;; amdgpu-corpus repo=ROCm/rocFFT kind=compiled arch=gfx1201 opt=O3
	.text
	.amdgcn_target "amdgcn-amd-amdhsa--gfx1201"
	.amdhsa_code_object_version 6
	.protected	bluestein_single_fwd_len150_dim1_sp_op_CI_CI ; -- Begin function bluestein_single_fwd_len150_dim1_sp_op_CI_CI
	.globl	bluestein_single_fwd_len150_dim1_sp_op_CI_CI
	.p2align	8
	.type	bluestein_single_fwd_len150_dim1_sp_op_CI_CI,@function
bluestein_single_fwd_len150_dim1_sp_op_CI_CI: ; @bluestein_single_fwd_len150_dim1_sp_op_CI_CI
; %bb.0:
	s_load_b128 s[16:19], s[0:1], 0x28
	v_mul_u32_u24_e32 v1, 0x3334, v0
	s_mov_b32 s2, exec_lo
	s_delay_alu instid0(VALU_DEP_1) | instskip(NEXT) | instid1(VALU_DEP_1)
	v_lshrrev_b32_e32 v1, 16, v1
	v_mad_co_u64_u32 v[148:149], null, ttmp9, 12, v[1:2]
	v_mov_b32_e32 v149, 0
	s_wait_kmcnt 0x0
	s_delay_alu instid0(VALU_DEP_1)
	v_cmpx_gt_u64_e64 s[16:17], v[148:149]
	s_cbranch_execz .LBB0_2
; %bb.1:
	s_clause 0x1
	s_load_b128 s[4:7], s[0:1], 0x18
	s_load_b128 s[8:11], s[0:1], 0x0
	v_mul_lo_u16 v1, v1, 5
	v_mul_hi_u32 v61, 0xaaaaaaab, v148
	s_delay_alu instid0(VALU_DEP_2) | instskip(NEXT) | instid1(VALU_DEP_2)
	v_sub_nc_u16 v56, v0, v1
	v_lshrrev_b32_e32 v61, 3, v61
	s_delay_alu instid0(VALU_DEP_2) | instskip(NEXT) | instid1(VALU_DEP_2)
	v_and_b32_e32 v196, 0xffff, v56
	v_mul_lo_u32 v61, v61, 12
	s_wait_kmcnt 0x0
	s_load_b128 s[12:15], s[4:5], 0x0
	s_delay_alu instid0(VALU_DEP_1) | instskip(NEXT) | instid1(VALU_DEP_1)
	v_sub_nc_u32_e32 v61, v148, v61
	v_mul_u32_u24_e32 v61, 0x96, v61
	s_delay_alu instid0(VALU_DEP_1)
	v_lshlrev_b32_e32 v62, 3, v61
	s_wait_kmcnt 0x0
	v_mad_co_u64_u32 v[0:1], null, s14, v148, 0
	v_mad_co_u64_u32 v[2:3], null, s12, v196, 0
	s_mul_u64 s[2:3], s[12:13], 0x78
	s_mul_u64 s[4:5], s[12:13], 0xf0
	s_delay_alu instid0(VALU_DEP_1) | instskip(NEXT) | instid1(VALU_DEP_1)
	v_mad_co_u64_u32 v[10:11], null, s15, v148, v[1:2]
	v_mov_b32_e32 v1, v10
	v_or_b32_e32 v195, 0x78, v196
	v_or_b32_e32 v194, 0x50, v196
	;; [unrolled: 1-line block ×3, first 2 shown]
	s_delay_alu instid0(VALU_DEP_4) | instskip(NEXT) | instid1(VALU_DEP_4)
	v_lshlrev_b64_e32 v[0:1], 3, v[0:1]
	v_mad_co_u64_u32 v[4:5], null, s12, v195, 0
	s_delay_alu instid0(VALU_DEP_4) | instskip(NEXT) | instid1(VALU_DEP_4)
	v_mad_co_u64_u32 v[6:7], null, s12, v194, 0
	v_mad_co_u64_u32 v[8:9], null, s12, v193, 0
	s_delay_alu instid0(VALU_DEP_3) | instskip(NEXT) | instid1(VALU_DEP_3)
	v_mad_co_u64_u32 v[11:12], null, s13, v196, v[3:4]
	v_mad_co_u64_u32 v[12:13], null, s13, v195, v[5:6]
	v_lshlrev_b32_e32 v72, 3, v196
	s_delay_alu instid0(VALU_DEP_4)
	v_mad_co_u64_u32 v[13:14], null, s13, v194, v[7:8]
	v_mad_co_u64_u32 v[14:15], null, s13, v193, v[9:10]
	v_mov_b32_e32 v3, v11
	v_mov_b32_e32 v5, v12
	v_add_co_u32 v12, vcc_lo, s18, v0
	s_clause 0x7
	global_load_b64 v[189:190], v72, s[8:9]
	global_load_b64 v[187:188], v72, s[8:9] offset:120
	global_load_b64 v[185:186], v72, s[8:9] offset:240
	;; [unrolled: 1-line block ×7, first 2 shown]
	v_lshlrev_b64_e32 v[2:3], 3, v[2:3]
	v_mov_b32_e32 v7, v13
	v_lshlrev_b64_e32 v[4:5], 3, v[4:5]
	v_add_co_ci_u32_e32 v13, vcc_lo, s19, v1, vcc_lo
	s_clause 0x3
	global_load_b64 v[161:162], v72, s[8:9] offset:400
	global_load_b64 v[132:133], v72, s[8:9] offset:440
	;; [unrolled: 1-line block ×4, first 2 shown]
	v_add_co_u32 v2, vcc_lo, v12, v2
	v_mov_b32_e32 v9, v14
	s_wait_alu 0xfffd
	v_add_co_ci_u32_e32 v3, vcc_lo, v13, v3, vcc_lo
	v_lshlrev_b64_e32 v[6:7], 3, v[6:7]
	v_add_co_u32 v4, vcc_lo, v12, v4
	s_wait_alu 0xfffd
	v_add_co_ci_u32_e32 v5, vcc_lo, v13, v5, vcc_lo
	v_lshlrev_b64_e32 v[0:1], 3, v[8:9]
	v_add_co_u32 v8, vcc_lo, v2, s2
	s_wait_alu 0xfffd
	v_add_co_ci_u32_e32 v9, vcc_lo, s3, v3, vcc_lo
	v_add_co_u32 v6, vcc_lo, v12, v6
	s_wait_alu 0xfffd
	v_add_co_ci_u32_e32 v7, vcc_lo, v13, v7, vcc_lo
	s_clause 0x1
	global_load_b64 v[2:3], v[2:3], off
	global_load_b64 v[4:5], v[4:5], off
	v_add_co_u32 v10, vcc_lo, v8, s2
	global_load_b64 v[6:7], v[6:7], off
	s_wait_alu 0xfffd
	v_add_co_ci_u32_e32 v11, vcc_lo, s3, v9, vcc_lo
	global_load_b64 v[8:9], v[8:9], off
	v_add_co_u32 v0, vcc_lo, v12, v0
	s_wait_alu 0xfffd
	v_add_co_ci_u32_e32 v1, vcc_lo, v13, v1, vcc_lo
	v_add_co_u32 v12, vcc_lo, v10, s2
	s_wait_alu 0xfffd
	v_add_co_ci_u32_e32 v13, vcc_lo, s3, v11, vcc_lo
	s_mulk_i32 s13, 0xfbf0
	s_delay_alu instid0(VALU_DEP_2) | instskip(SKIP_1) | instid1(VALU_DEP_2)
	v_add_co_u32 v14, vcc_lo, v12, s2
	s_wait_alu 0xfffd
	v_add_co_ci_u32_e32 v15, vcc_lo, s3, v13, vcc_lo
	s_wait_alu 0xfffe
	s_sub_co_i32 s13, s13, s12
	v_add_co_u32 v16, vcc_lo, v14, s2
	s_wait_alu 0xfffd
	v_add_co_ci_u32_e32 v17, vcc_lo, s3, v15, vcc_lo
	global_load_b64 v[0:1], v[0:1], off
	v_add_co_u32 v18, vcc_lo, v16, s2
	s_wait_alu 0xfffd
	v_add_co_ci_u32_e32 v19, vcc_lo, s3, v17, vcc_lo
	s_clause 0x1
	global_load_b64 v[181:182], v72, s[8:9] offset:840
	global_load_b64 v[179:180], v72, s[8:9] offset:1080
	global_load_b64 v[10:11], v[10:11], off
	v_add_co_u32 v20, vcc_lo, v18, s2
	s_wait_alu 0xfffd
	v_add_co_ci_u32_e32 v21, vcc_lo, s3, v19, vcc_lo
	s_clause 0x1
	global_load_b64 v[171:172], v72, s[8:9] offset:40
	global_load_b64 v[167:168], v72, s[8:9] offset:160
	v_add_co_u32 v22, vcc_lo, v20, s4
	s_wait_alu 0xfffd
	v_add_co_ci_u32_e32 v23, vcc_lo, s5, v21, vcc_lo
	global_load_b64 v[169:170], v72, s[8:9] offset:280
	s_clause 0x1
	global_load_b64 v[12:13], v[12:13], off
	global_load_b64 v[14:15], v[14:15], off
	;; [unrolled: 1-line block ×3, first 2 shown]
	v_mad_co_u64_u32 v[24:25], null, 0xfffffbf0, s12, v[22:23]
	global_load_b64 v[18:19], v[18:19], off
	global_load_b64 v[20:21], v[20:21], off
	;; [unrolled: 1-line block ×3, first 2 shown]
	global_load_b64 v[163:164], v72, s[8:9] offset:520
	s_wait_alu 0xfffe
	v_add_nc_u32_e32 v25, s13, v25
	v_add_co_u32 v26, vcc_lo, v24, s2
	s_wait_loadcnt 0x11
	v_mul_f32_e32 v63, v3, v190
	v_mul_f32_e32 v61, v2, v190
	s_wait_loadcnt 0x10
	v_mul_f32_e32 v65, v5, v174
	v_mul_f32_e32 v66, v4, v174
	s_wait_loadcnt 0xf
	v_mul_f32_e32 v68, v6, v156
	s_wait_alu 0xfffd
	v_add_co_ci_u32_e32 v27, vcc_lo, s3, v25, vcc_lo
	v_add_co_u32 v28, vcc_lo, v26, s2
	v_fmac_f32_e32 v63, v2, v189
	s_wait_alu 0xfffd
	s_delay_alu instid0(VALU_DEP_3) | instskip(NEXT) | instid1(VALU_DEP_3)
	v_add_co_ci_u32_e32 v29, vcc_lo, s3, v27, vcc_lo
	v_add_co_u32 v30, vcc_lo, v28, s2
	global_load_b64 v[24:25], v[24:25], off
	s_wait_alu 0xfffd
	v_add_co_ci_u32_e32 v31, vcc_lo, s3, v29, vcc_lo
	v_add_co_u32 v32, vcc_lo, v30, s2
	global_load_b64 v[26:27], v[26:27], off
	s_wait_alu 0xfffd
	;; [unrolled: 4-line block ×3, first 2 shown]
	v_add_co_ci_u32_e32 v35, vcc_lo, s5, v33, vcc_lo
	v_add_co_u32 v36, vcc_lo, v34, s2
	global_load_b64 v[165:166], v72, s[8:9] offset:760
	global_load_b64 v[30:31], v[30:31], off
	global_load_b64 v[159:160], v72, s[8:9] offset:880
	s_wait_alu 0xfffd
	v_add_co_ci_u32_e32 v37, vcc_lo, s3, v35, vcc_lo
	v_add_co_u32 v38, vcc_lo, v36, s2
	v_mul_f32_e32 v67, v7, v156
	s_wait_alu 0xfffd
	s_delay_alu instid0(VALU_DEP_3) | instskip(NEXT) | instid1(VALU_DEP_3)
	v_add_co_ci_u32_e32 v39, vcc_lo, s3, v37, vcc_lo
	v_add_co_u32 v40, vcc_lo, v38, s2
	s_clause 0x1
	global_load_b64 v[157:158], v72, s[8:9] offset:1000
	global_load_b64 v[151:152], v72, s[8:9] offset:1120
	global_load_b64 v[32:33], v[32:33], off
	s_clause 0x1
	global_load_b64 v[153:154], v72, s[8:9] offset:80
	global_load_b64 v[149:150], v72, s[8:9] offset:200
	global_load_b64 v[34:35], v[34:35], off
	global_load_b64 v[36:37], v[36:37], off
	s_wait_alu 0xfffd
	v_add_co_ci_u32_e32 v41, vcc_lo, s3, v39, vcc_lo
	s_wait_loadcnt 0x1b
	v_mul_f32_e32 v2, v9, v188
	global_load_b64 v[38:39], v[38:39], off
	s_wait_loadcnt 0x1b
	v_mul_f32_e32 v69, v1, v135
	v_mad_co_u64_u32 v[42:43], null, 0xfffffbf0, s12, v[40:41]
	global_load_b64 v[40:41], v[40:41], off
	v_mul_f32_e32 v70, v0, v135
	s_wait_loadcnt 0x14
	v_dual_fmac_f32 v67, v6, v155 :: v_dual_mul_f32 v6, v15, v184
	v_dual_fmac_f32 v65, v4, v173 :: v_dual_mul_f32 v4, v13, v192
	v_add_nc_u32_e32 v43, s13, v43
	v_add_co_u32 v44, vcc_lo, v42, s2
	v_fma_f32 v64, v3, v189, -v61
	v_dual_mul_f32 v3, v8, v188 :: v_dual_fmac_f32 v6, v14, v183
	s_wait_alu 0xfffd
	v_add_co_ci_u32_e32 v45, vcc_lo, s3, v43, vcc_lo
	v_add_co_u32 v46, vcc_lo, v44, s4
	global_load_b64 v[42:43], v[42:43], off
	s_wait_alu 0xfffd
	v_add_co_ci_u32_e32 v47, vcc_lo, s5, v45, vcc_lo
	v_add_co_u32 v48, vcc_lo, v46, s2
	global_load_b64 v[44:45], v[44:45], off
	;; [unrolled: 4-line block ×3, first 2 shown]
	s_wait_alu 0xfffd
	v_add_co_ci_u32_e32 v51, vcc_lo, s3, v49, vcc_lo
	v_add_co_u32 v52, vcc_lo, v50, s2
	v_fmac_f32_e32 v69, v0, v134
	s_wait_alu 0xfffd
	s_delay_alu instid0(VALU_DEP_3)
	v_add_co_ci_u32_e32 v53, vcc_lo, s3, v51, vcc_lo
	global_load_b64 v[146:147], v72, s[8:9] offset:560
	global_load_b64 v[48:49], v[48:49], off
	global_load_b64 v[142:143], v72, s[8:9] offset:680
	global_load_b64 v[50:51], v[50:51], off
	global_load_b64 v[54:55], v[52:53], off
	v_add_co_u32 v52, vcc_lo, v52, s2
	s_wait_alu 0xfffd
	v_add_co_ci_u32_e32 v53, vcc_lo, s3, v53, vcc_lo
	s_clause 0x1
	global_load_b64 v[136:137], v72, s[8:9] offset:920
	global_load_b64 v[144:145], v72, s[8:9] offset:800
	v_add_co_u32 v57, vcc_lo, v52, s2
	s_wait_alu 0xfffd
	v_add_co_ci_u32_e32 v58, vcc_lo, s3, v53, vcc_lo
	global_load_b64 v[52:53], v[52:53], off
	v_add_co_u32 v59, vcc_lo, v57, s2
	s_wait_alu 0xfffd
	v_add_co_ci_u32_e32 v60, vcc_lo, s3, v58, vcc_lo
	global_load_b64 v[57:58], v[57:58], off
	s_clause 0x1
	global_load_b64 v[138:139], v72, s[8:9] offset:1040
	global_load_b64 v[140:141], v72, s[8:9] offset:1160
	global_load_b64 v[59:60], v[59:60], off
	v_mul_f32_e32 v0, v11, v186
	v_fma_f32 v70, v1, v134, -v70
	v_mul_f32_e32 v1, v10, v186
	v_fma_f32 v66, v5, v173, -v66
	;; [unrolled: 2-line block ×3, first 2 shown]
	v_mul_f32_e32 v7, v14, v184
	v_dual_fmac_f32 v0, v10, v185 :: v_dual_add_nc_u32 v197, v72, v62
	v_fmac_f32_e32 v2, v8, v187
	v_fma_f32 v3, v9, v187, -v3
	v_fma_f32 v1, v11, v185, -v1
	v_fmac_f32_e32 v4, v12, v191
	v_fma_f32 v5, v13, v191, -v5
	v_fma_f32 v7, v15, v183, -v7
	s_wait_loadcnt 0x22
	v_mul_f32_e32 v8, v17, v178
	v_mul_f32_e32 v9, v16, v178
	s_load_b128 s[4:7], s[6:7], 0x0
	ds_store_b64 v197, v[2:3] offset:120
	ds_store_b64 v197, v[0:1] offset:240
	;; [unrolled: 1-line block ×4, first 2 shown]
	s_wait_loadcnt 0x1f
	v_mul_f32_e32 v4, v23, v180
	v_mul_f32_e32 v0, v19, v176
	v_dual_mul_f32 v1, v18, v176 :: v_dual_mul_f32 v2, v21, v182
	v_mul_f32_e32 v3, v20, v182
	v_dual_mul_f32 v5, v22, v180 :: v_dual_fmac_f32 v8, v16, v177
	v_fma_f32 v9, v17, v177, -v9
	v_fmac_f32_e32 v0, v18, v175
	v_fma_f32 v1, v19, v175, -v1
	v_fmac_f32_e32 v2, v20, v181
	v_fma_f32 v5, v23, v179, -v5
	s_add_nc_u64 s[2:3], s[8:9], 0x4b0
	v_fmac_f32_e32 v4, v22, v179
	s_wait_loadcnt 0x1d
	v_mul_f32_e32 v6, v25, v172
	v_fma_f32 v3, v21, v181, -v3
	v_mul_f32_e32 v7, v24, v172
	ds_store_b64 v197, v[8:9] offset:600
	ds_store_b64 v197, v[0:1] offset:720
	;; [unrolled: 1-line block ×5, first 2 shown]
	s_wait_loadcnt 0x1c
	v_mul_f32_e32 v10, v27, v168
	v_fmac_f32_e32 v6, v24, v171
	v_fma_f32 v7, v25, v171, -v7
	s_wait_loadcnt 0x1b
	v_mul_f32_e32 v3, v28, v170
	v_dual_mul_f32 v0, v29, v170 :: v_dual_mul_f32 v1, v26, v168
	ds_store_2addr_b64 v197, v[63:64], v[6:7] offset1:5
	s_wait_loadcnt 0x19
	v_mul_f32_e32 v2, v31, v162
	v_dual_mul_f32 v5, v30, v162 :: v_dual_fmac_f32 v0, v28, v169
	v_fma_f32 v11, v27, v167, -v1
	v_fma_f32 v1, v29, v169, -v3
	s_delay_alu instid0(VALU_DEP_4)
	v_fmac_f32_e32 v2, v30, v161
	v_fmac_f32_e32 v10, v26, v167
	s_wait_loadcnt 0x15
	v_mul_f32_e32 v4, v33, v164
	v_fma_f32 v3, v31, v161, -v5
	s_wait_loadcnt 0x12
	v_dual_mul_f32 v5, v32, v164 :: v_dual_mul_f32 v6, v35, v166
	ds_store_2addr_b64 v197, v[0:1], v[69:70] offset0:35 offset1:40
	v_dual_fmac_f32 v4, v32, v163 :: v_dual_mul_f32 v1, v34, v166
	s_wait_loadcnt 0x10
	v_dual_mul_f32 v0, v37, v160 :: v_dual_mul_f32 v13, v38, v158
	v_dual_mul_f32 v9, v36, v160 :: v_dual_mul_f32 v8, v39, v158
	s_delay_alu instid0(VALU_DEP_3) | instskip(NEXT) | instid1(VALU_DEP_3)
	v_fma_f32 v7, v35, v165, -v1
	v_fmac_f32_e32 v0, v36, v159
	s_wait_loadcnt 0xf
	v_mul_f32_e32 v12, v41, v152
	v_fma_f32 v1, v37, v159, -v9
	v_fma_f32 v9, v39, v157, -v13
	v_dual_mul_f32 v13, v40, v152 :: v_dual_fmac_f32 v6, v34, v165
	v_fma_f32 v5, v33, v163, -v5
	v_add_nc_u32_e32 v63, 10, v196
	s_delay_alu instid0(VALU_DEP_3)
	v_fma_f32 v13, v41, v151, -v13
	s_wait_loadcnt 0xe
	v_mul_f32_e32 v14, v43, v154
	v_mul_f32_e32 v15, v42, v154
	s_wait_loadcnt 0xd
	v_mul_f32_e32 v16, v45, v150
	s_delay_alu instid0(VALU_DEP_3) | instskip(NEXT) | instid1(VALU_DEP_3)
	v_dual_mul_f32 v17, v44, v150 :: v_dual_fmac_f32 v14, v42, v153
	v_fma_f32 v15, v43, v153, -v15
	s_wait_loadcnt 0xc
	v_mul_f32_e32 v18, v47, v133
	v_mul_f32_e32 v19, v46, v133
	v_fmac_f32_e32 v16, v44, v149
	v_fma_f32 v17, v45, v149, -v17
	ds_store_b64 v197, v[14:15] offset:80
	s_wait_loadcnt 0xa
	v_mul_f32_e32 v20, v49, v147
	v_dual_mul_f32 v21, v48, v147 :: v_dual_fmac_f32 v18, v46, v132
	v_fma_f32 v19, v47, v132, -v19
	ds_store_2addr_b64 v197, v[10:11], v[16:17] offset0:20 offset1:25
	ds_store_2addr_b64 v197, v[2:3], v[18:19] offset0:50 offset1:55
	v_fma_f32 v21, v49, v146, -v21
	s_wait_loadcnt 0x8
	v_mul_f32_e32 v2, v51, v143
	v_mul_f32_e32 v3, v50, v143
	v_fmac_f32_e32 v12, v40, v151
	v_fmac_f32_e32 v8, v38, v157
	s_wait_loadcnt 0x4
	v_mul_f32_e32 v10, v53, v137
	v_dual_mul_f32 v11, v52, v137 :: v_dual_fmac_f32 v2, v50, v142
	s_wait_loadcnt 0x2
	v_mul_f32_e32 v14, v58, v139
	v_mul_f32_e32 v15, v57, v139
	s_wait_loadcnt 0x0
	v_dual_mul_f32 v17, v59, v141 :: v_dual_fmac_f32 v20, v48, v146
	v_mul_f32_e32 v16, v60, v141
	v_fma_f32 v3, v51, v142, -v3
	v_fmac_f32_e32 v10, v52, v136
	v_fma_f32 v11, v53, v136, -v11
	ds_store_2addr_b64 v197, v[4:5], v[20:21] offset0:65 offset1:70
	v_mul_f32_e32 v4, v55, v145
	v_dual_mul_f32 v5, v54, v145 :: v_dual_fmac_f32 v14, v57, v138
	v_fma_f32 v15, v58, v138, -v15
	v_fmac_f32_e32 v16, v59, v140
	s_delay_alu instid0(VALU_DEP_4) | instskip(NEXT) | instid1(VALU_DEP_4)
	v_fmac_f32_e32 v4, v54, v144
	v_fma_f32 v5, v55, v144, -v5
	v_fma_f32 v17, v60, v140, -v17
	ds_store_2addr_b64 v197, v[67:68], v[2:3] offset0:80 offset1:85
	ds_store_2addr_b64 v197, v[6:7], v[4:5] offset0:95 offset1:100
	;; [unrolled: 1-line block ×5, first 2 shown]
	global_wb scope:SCOPE_SE
	s_wait_dscnt 0x0
	s_wait_kmcnt 0x0
	s_barrier_signal -1
	s_barrier_wait -1
	global_inv scope:SCOPE_SE
	ds_load_2addr_b64 v[40:43], v197 offset1:5
	ds_load_2addr_b64 v[44:47], v197 offset0:30 offset1:35
	ds_load_2addr_b64 v[48:51], v197 offset0:60 offset1:65
	;; [unrolled: 1-line block ×14, first 2 shown]
	v_add_nc_u32_e32 v64, 5, v196
	global_wb scope:SCOPE_SE
	s_wait_dscnt 0x0
	s_barrier_signal -1
	s_barrier_wait -1
	global_inv scope:SCOPE_SE
	v_add_f32_e32 v81, v2, v26
	v_sub_f32_e32 v85, v26, v30
	v_add_f32_e32 v82, v30, v34
	v_dual_sub_f32 v86, v38, v34 :: v_dual_add_f32 v61, v40, v44
	v_sub_f32_e32 v109, v47, v51
	v_add_f32_e32 v65, v48, v52
	v_dual_sub_f32 v68, v44, v48 :: v_dual_sub_f32 v89, v34, v38
	v_sub_f32_e32 v69, v57, v52
	v_dual_sub_f32 v66, v45, v58 :: v_dual_sub_f32 v93, v27, v31
	v_dual_add_f32 v70, v44, v57 :: v_dual_add_f32 v95, v27, v39
	v_sub_f32_e32 v71, v48, v44
	v_sub_f32_e32 v73, v52, v57
	v_add_f32_e32 v74, v41, v45
	v_add_f32_e32 v75, v49, v53
	v_dual_sub_f32 v44, v44, v57 :: v_dual_add_f32 v97, v42, v46
	v_dual_sub_f32 v76, v48, v52 :: v_dual_sub_f32 v101, v46, v50
	v_sub_f32_e32 v77, v45, v49
	v_dual_sub_f32 v78, v58, v53 :: v_dual_sub_f32 v99, v47, v60
	v_add_f32_e32 v79, v45, v58
	v_add_f32_e32 v87, v26, v38
	v_dual_sub_f32 v88, v30, v26 :: v_dual_add_f32 v111, v47, v60
	v_dual_add_f32 v90, v3, v27 :: v_dual_sub_f32 v115, v17, v9
	v_sub_f32_e32 v26, v26, v38
	v_sub_f32_e32 v94, v39, v35
	;; [unrolled: 1-line block ×3, first 2 shown]
	v_add_f32_e32 v48, v61, v48
	v_fma_f32 v61, -0.5, v65, v40
	v_dual_add_f32 v65, v68, v69 :: v_dual_add_f32 v106, v43, v47
	v_sub_f32_e32 v47, v51, v47
	v_sub_f32_e32 v67, v49, v53
	;; [unrolled: 1-line block ×3, first 2 shown]
	v_dual_sub_f32 v80, v53, v58 :: v_dual_add_f32 v103, v46, v59
	v_sub_f32_e32 v83, v27, v39
	v_dual_sub_f32 v84, v31, v35 :: v_dual_add_f32 v113, v4, v16
	v_dual_add_f32 v91, v31, v35 :: v_dual_sub_f32 v92, v30, v34
	v_add_f32_e32 v117, v16, v8
	v_sub_f32_e32 v27, v31, v27
	v_dual_sub_f32 v96, v35, v39 :: v_dual_add_f32 v49, v74, v49
	v_add_f32_e32 v107, v51, v55
	v_fma_f32 v68, -0.5, v70, v40
	v_fma_f32 v69, -0.5, v75, v41
	v_dual_add_f32 v70, v77, v78 :: v_dual_add_f32 v31, v90, v31
	v_dual_sub_f32 v110, v60, v55 :: v_dual_add_f32 v47, v47, v112
	v_add_f32_e32 v40, v71, v73
	v_fma_f32 v71, -0.5, v79, v41
	v_fma_f32 v73, -0.5, v82, v2
	;; [unrolled: 1-line block ×3, first 2 shown]
	v_dual_add_f32 v77, v93, v94 :: v_dual_add_f32 v114, v20, v12
	v_dual_add_f32 v98, v50, v54 :: v_dual_add_f32 v41, v45, v80
	v_dual_sub_f32 v100, v51, v55 :: v_dual_add_f32 v45, v85, v86
	v_dual_sub_f32 v102, v59, v54 :: v_dual_sub_f32 v105, v54, v59
	v_dual_sub_f32 v104, v50, v46 :: v_dual_add_f32 v27, v27, v96
	v_sub_f32_e32 v108, v50, v54
	v_add_f32_e32 v30, v81, v30
	v_add_f32_e32 v74, v88, v89
	v_fma_f32 v75, -0.5, v91, v3
	v_fma_f32 v3, -0.5, v95, v3
	v_dual_add_f32 v50, v97, v50 :: v_dual_fmamk_f32 v89, v84, 0xbf737871, v2
	v_add_f32_e32 v51, v106, v51
	v_fma_f32 v86, -0.5, v114, v4
	v_fma_f32 v87, -0.5, v117, v4
	v_dual_add_f32 v49, v49, v53 :: v_dual_fmamk_f32 v88, v76, 0x3f737871, v71
	v_fmamk_f32 v53, v44, 0xbf737871, v69
	v_add_f32_e32 v4, v48, v52
	v_dual_fmamk_f32 v52, v67, 0xbf737871, v68 :: v_dual_fmac_f32 v71, 0xbf737871, v76
	v_dual_fmac_f32 v2, 0x3f737871, v84 :: v_dual_add_f32 v51, v51, v55
	v_dual_sub_f32 v46, v46, v59 :: v_dual_add_f32 v79, v101, v102
	v_sub_f32_e32 v116, v21, v13
	v_fma_f32 v78, -0.5, v98, v42
	v_fma_f32 v42, -0.5, v103, v42
	v_dual_add_f32 v80, v104, v105 :: v_dual_add_f32 v31, v31, v35
	v_fma_f32 v85, -0.5, v107, v43
	v_dual_add_f32 v82, v113, v20 :: v_dual_fmamk_f32 v35, v26, 0xbf737871, v75
	v_dual_fmamk_f32 v48, v66, 0x3f737871, v61 :: v_dual_fmamk_f32 v91, v99, 0x3f737871, v78
	v_fmac_f32_e32 v61, 0xbf737871, v66
	v_fmac_f32_e32 v68, 0x3f737871, v67
	v_dual_add_f32 v30, v30, v34 :: v_dual_fmamk_f32 v93, v100, 0xbf737871, v42
	v_dual_fmamk_f32 v34, v83, 0x3f737871, v73 :: v_dual_add_f32 v49, v49, v58
	v_dual_fmamk_f32 v90, v92, 0x3f737871, v3 :: v_dual_add_f32 v31, v31, v39
	v_fmac_f32_e32 v3, 0xbf737871, v92
	v_dual_fmac_f32 v52, 0x3f167918, v66 :: v_dual_fmac_f32 v71, 0x3f167918, v44
	v_dual_fmac_f32 v2, 0xbf167918, v83 :: v_dual_fmac_f32 v35, 0xbf167918, v92
	v_fmac_f32_e32 v43, -0.5, v111
	v_fmac_f32_e32 v69, 0x3f737871, v44
	v_fmac_f32_e32 v73, 0xbf737871, v83
	;; [unrolled: 1-line block ×3, first 2 shown]
	s_delay_alu instid0(VALU_DEP_4)
	v_dual_add_f32 v50, v50, v54 :: v_dual_fmamk_f32 v95, v108, 0x3f737871, v43
	v_fmamk_f32 v94, v46, 0xbf737871, v85
	v_dual_fmac_f32 v85, 0x3f737871, v46 :: v_dual_add_f32 v54, v82, v12
	v_dual_fmac_f32 v61, 0xbf167918, v67 :: v_dual_add_f32 v4, v4, v57
	v_dual_fmac_f32 v53, 0xbf167918, v76 :: v_dual_fmac_f32 v68, 0xbf167918, v66
	v_dual_fmac_f32 v73, 0xbf167918, v84 :: v_dual_add_f32 v30, v30, v38
	v_dual_fmac_f32 v89, 0x3f167918, v83 :: v_dual_fmac_f32 v34, 0x3f167918, v84
	v_fmac_f32_e32 v3, 0x3f167918, v26
	v_dual_fmac_f32 v71, 0x3e9e377a, v41 :: v_dual_fmac_f32 v2, 0x3e9e377a, v74
	v_dual_add_f32 v81, v109, v110 :: v_dual_fmac_f32 v48, 0x3f167918, v67
	v_fmac_f32_e32 v69, 0x3f167918, v76
	v_dual_fmac_f32 v88, 0xbf167918, v44 :: v_dual_fmac_f32 v95, 0xbf167918, v46
	v_dual_fmac_f32 v91, 0x3f167918, v100 :: v_dual_add_f32 v44, v4, v30
	v_fmac_f32_e32 v85, 0x3f167918, v108
	v_dual_fmac_f32 v61, 0x3e9e377a, v65 :: v_dual_fmac_f32 v52, 0x3e9e377a, v40
	v_dual_fmac_f32 v68, 0x3e9e377a, v40 :: v_dual_fmac_f32 v69, 0x3e9e377a, v70
	;; [unrolled: 1-line block ×3, first 2 shown]
	v_sub_f32_e32 v40, v4, v30
	v_mul_f32_e32 v30, 0xbe9e377a, v2
	v_fmac_f32_e32 v42, 0x3f737871, v100
	v_fmac_f32_e32 v75, 0x3f167918, v92
	v_mul_f32_e32 v55, 0xbe9e377a, v3
	v_fmac_f32_e32 v73, 0x3e9e377a, v45
	v_fmac_f32_e32 v30, 0x3f737871, v3
	;; [unrolled: 1-line block ×3, first 2 shown]
	v_add_f32_e32 v26, v50, v59
	v_add_f32_e32 v45, v49, v31
	s_delay_alu instid0(VALU_DEP_4) | instskip(SKIP_3) | instid1(VALU_DEP_4)
	v_dual_fmac_f32 v42, 0xbf167918, v99 :: v_dual_add_f32 v59, v68, v30
	v_fmac_f32_e32 v75, 0x3e9e377a, v77
	v_dual_fmac_f32 v48, 0x3e9e377a, v65 :: v_dual_fmac_f32 v53, 0x3e9e377a, v70
	v_dual_fmac_f32 v88, 0x3e9e377a, v41 :: v_dual_fmac_f32 v89, 0x3e9e377a, v74
	v_fmac_f32_e32 v42, 0x3e9e377a, v80
	s_delay_alu instid0(VALU_DEP_4) | instskip(SKIP_1) | instid1(VALU_DEP_4)
	v_mul_f32_e32 v65, 0xbf4f1bbd, v75
	v_dual_fmac_f32 v93, 0x3f167918, v99 :: v_dual_add_f32 v76, v51, v60
	v_mul_f32_e32 v51, 0xbf737871, v89
	v_dual_fmac_f32 v55, 0xbf737871, v2 :: v_dual_sub_f32 v2, v16, v20
	s_delay_alu instid0(VALU_DEP_4)
	v_fmac_f32_e32 v65, 0xbf167918, v73
	v_fmac_f32_e32 v90, 0x3e9e377a, v27
	v_sub_f32_e32 v41, v49, v31
	v_fmamk_f32 v3, v115, 0x3f737871, v86
	v_fmac_f32_e32 v86, 0xbf737871, v115
	v_dual_mul_f32 v31, 0xbf4f1bbd, v73 :: v_dual_add_f32 v60, v71, v55
	v_fmac_f32_e32 v51, 0x3e9e377a, v90
	v_mul_f32_e32 v27, 0x3f737871, v90
	v_dual_fmac_f32 v78, 0xbf737871, v99 :: v_dual_fmac_f32 v43, 0xbf737871, v108
	s_delay_alu instid0(VALU_DEP_4) | instskip(NEXT) | instid1(VALU_DEP_3)
	v_fmac_f32_e32 v31, 0x3f167918, v75
	v_dual_add_f32 v58, v88, v51 :: v_dual_fmac_f32 v27, 0x3e9e377a, v89
	s_delay_alu instid0(VALU_DEP_3)
	v_dual_add_f32 v82, v54, v8 :: v_dual_fmac_f32 v43, 0x3f167918, v46
	v_dual_mul_f32 v4, 0x3f4f1bbd, v34 :: v_dual_add_f32 v39, v69, v65
	v_dual_mul_f32 v34, 0xbf167918, v34 :: v_dual_sub_f32 v51, v88, v51
	v_sub_f32_e32 v54, v61, v31
	v_dual_fmac_f32 v78, 0xbf167918, v100 :: v_dual_add_f32 v57, v52, v27
	v_fmac_f32_e32 v35, 0x3e9e377a, v77
	v_fmac_f32_e32 v43, 0x3e9e377a, v47
	v_sub_f32_e32 v50, v52, v27
	s_delay_alu instid0(VALU_DEP_4) | instskip(SKIP_3) | instid1(VALU_DEP_2)
	v_fmac_f32_e32 v78, 0x3e9e377a, v79
	v_fmamk_f32 v27, v116, 0xbf737871, v87
	v_fmac_f32_e32 v34, 0x3f4f1bbd, v35
	v_dual_fmac_f32 v4, 0x3f167918, v35 :: v_dual_sub_f32 v75, v26, v82
	v_sub_f32_e32 v49, v53, v34
	s_delay_alu instid0(VALU_DEP_2)
	v_dual_fmac_f32 v85, 0x3e9e377a, v81 :: v_dual_add_f32 v46, v48, v4
	v_dual_fmac_f32 v95, 0x3e9e377a, v47 :: v_dual_sub_f32 v48, v48, v4
	v_sub_f32_e32 v4, v8, v12
	v_dual_fmac_f32 v93, 0x3e9e377a, v80 :: v_dual_add_f32 v38, v61, v31
	v_sub_f32_e32 v31, v12, v8
	v_dual_fmac_f32 v94, 0xbf167918, v108 :: v_dual_add_f32 v47, v53, v34
	s_delay_alu instid0(VALU_DEP_4) | instskip(SKIP_2) | instid1(VALU_DEP_4)
	v_dual_sub_f32 v53, v71, v55 :: v_dual_add_f32 v2, v2, v4
	v_dual_sub_f32 v55, v69, v65 :: v_dual_sub_f32 v52, v68, v30
	v_dual_sub_f32 v30, v20, v16 :: v_dual_fmac_f32 v91, 0x3e9e377a, v79
	v_fmac_f32_e32 v94, 0x3e9e377a, v81
	s_delay_alu instid0(VALU_DEP_2)
	v_dual_add_f32 v4, v30, v31 :: v_dual_fmac_f32 v3, 0x3f167918, v116
	v_add_f32_e32 v30, v17, v9
	v_add_f32_e32 v31, v5, v17
	v_fmac_f32_e32 v87, 0x3f737871, v116
	v_fmac_f32_e32 v86, 0xbf167918, v116
	;; [unrolled: 1-line block ×3, first 2 shown]
	s_delay_alu instid0(VALU_DEP_3) | instskip(NEXT) | instid1(VALU_DEP_3)
	v_fmac_f32_e32 v87, 0xbf167918, v115
	v_fmac_f32_e32 v86, 0x3e9e377a, v2
	v_dual_add_f32 v2, v21, v13 :: v_dual_fmac_f32 v27, 0x3f167918, v115
	s_delay_alu instid0(VALU_DEP_3) | instskip(NEXT) | instid1(VALU_DEP_2)
	v_fmac_f32_e32 v87, 0x3e9e377a, v4
	v_fma_f32 v34, -0.5, v2, v5
	v_sub_f32_e32 v2, v16, v8
	v_sub_f32_e32 v16, v17, v21
	v_sub_f32_e32 v8, v20, v12
	v_fma_f32 v5, -0.5, v30, v5
	v_fmac_f32_e32 v27, 0x3e9e377a, v4
	v_fmamk_f32 v12, v2, 0xbf737871, v34
	v_add_f32_e32 v4, v31, v21
	s_delay_alu instid0(VALU_DEP_4) | instskip(NEXT) | instid1(VALU_DEP_3)
	v_dual_sub_f32 v17, v21, v17 :: v_dual_fmamk_f32 v20, v8, 0x3f737871, v5
	v_dual_sub_f32 v21, v13, v9 :: v_dual_fmac_f32 v12, 0xbf167918, v8
	v_dual_sub_f32 v30, v9, v13 :: v_dual_fmac_f32 v5, 0xbf737871, v8
	s_delay_alu instid0(VALU_DEP_2) | instskip(NEXT) | instid1(VALU_DEP_2)
	v_dual_fmac_f32 v20, 0xbf167918, v2 :: v_dual_add_f32 v17, v17, v21
	v_fmac_f32_e32 v5, 0x3f167918, v2
	s_delay_alu instid0(VALU_DEP_2) | instskip(SKIP_2) | instid1(VALU_DEP_4)
	v_fmac_f32_e32 v20, 0x3e9e377a, v17
	v_fmac_f32_e32 v34, 0x3f737871, v2
	v_add_f32_e32 v2, v4, v13
	v_dual_add_f32 v16, v16, v30 :: v_dual_fmac_f32 v5, 0x3e9e377a, v17
	s_delay_alu instid0(VALU_DEP_4) | instskip(SKIP_1) | instid1(VALU_DEP_4)
	v_mul_f32_e32 v13, 0x3f737871, v20
	v_mul_f32_e32 v17, 0xbe9e377a, v87
	v_add_f32_e32 v9, v2, v9
	v_add_f32_e32 v2, v26, v82
	v_mul_f32_e32 v30, 0xbe9e377a, v5
	v_dual_fmac_f32 v12, 0x3e9e377a, v16 :: v_dual_fmac_f32 v13, 0x3e9e377a, v27
	v_fmac_f32_e32 v34, 0x3f167918, v8
	v_fmac_f32_e32 v17, 0x3f737871, v5
	v_mul_f32_e32 v8, 0x3f4f1bbd, v3
	v_fmac_f32_e32 v30, 0xbf737871, v87
	v_mul_f32_e32 v21, 0xbf167918, v3
	v_add_f32_e32 v65, v93, v13
	v_dual_add_f32 v67, v42, v17 :: v_dual_fmac_f32 v34, 0x3e9e377a, v16
	s_delay_alu instid0(VALU_DEP_4) | instskip(NEXT) | instid1(VALU_DEP_4)
	v_dual_add_f32 v3, v76, v9 :: v_dual_add_f32 v68, v43, v30
	v_fmac_f32_e32 v21, 0x3f4f1bbd, v12
	v_fmac_f32_e32 v8, 0x3f167918, v12
	v_dual_mul_f32 v27, 0xbf737871, v27 :: v_dual_add_f32 v12, v0, v24
	v_sub_f32_e32 v79, v93, v13
	s_delay_alu instid0(VALU_DEP_4) | instskip(NEXT) | instid1(VALU_DEP_4)
	v_dual_add_f32 v5, v94, v21 :: v_dual_mul_f32 v16, 0xbf4f1bbd, v86
	v_sub_f32_e32 v77, v91, v8
	v_add_f32_e32 v4, v91, v8
	v_add_f32_e32 v8, v28, v32
	v_fmac_f32_e32 v27, 0x3e9e377a, v20
	v_dual_sub_f32 v81, v42, v17 :: v_dual_fmac_f32 v16, 0x3f167918, v34
	v_sub_f32_e32 v76, v76, v9
	s_delay_alu instid0(VALU_DEP_4) | instskip(SKIP_1) | instid1(VALU_DEP_4)
	v_fma_f32 v17, -0.5, v8, v0
	v_dual_sub_f32 v8, v25, v37 :: v_dual_mul_f32 v31, 0xbf4f1bbd, v34
	v_dual_add_f32 v66, v95, v27 :: v_dual_add_f32 v73, v78, v16
	v_sub_f32_e32 v83, v78, v16
	v_add_f32_e32 v9, v12, v28
	s_delay_alu instid0(VALU_DEP_4) | instskip(SKIP_2) | instid1(VALU_DEP_3)
	v_dual_fmac_f32 v31, 0xbf167918, v86 :: v_dual_sub_f32 v80, v95, v27
	v_fmamk_f32 v20, v8, 0x3f737871, v17
	v_dual_sub_f32 v12, v29, v33 :: v_dual_sub_f32 v13, v24, v28
	v_add_f32_e32 v74, v85, v31
	v_dual_sub_f32 v78, v94, v21 :: v_dual_add_f32 v21, v24, v36
	v_sub_f32_e32 v82, v43, v30
	v_dual_sub_f32 v16, v36, v32 :: v_dual_add_f32 v27, v1, v25
	v_add_f32_e32 v9, v9, v32
	s_delay_alu instid0(VALU_DEP_4) | instskip(SKIP_1) | instid1(VALU_DEP_4)
	v_fma_f32 v0, -0.5, v21, v0
	v_dual_sub_f32 v84, v85, v31 :: v_dual_fmac_f32 v17, 0xbf737871, v8
	v_add_f32_e32 v13, v13, v16
	s_delay_alu instid0(VALU_DEP_3) | instskip(SKIP_1) | instid1(VALU_DEP_4)
	v_dual_add_f32 v16, v9, v36 :: v_dual_fmamk_f32 v21, v12, 0xbf737871, v0
	v_dual_sub_f32 v9, v28, v24 :: v_dual_add_f32 v30, v29, v33
	v_fmac_f32_e32 v17, 0xbf167918, v12
	v_sub_f32_e32 v26, v32, v36
	v_fmac_f32_e32 v20, 0x3f167918, v12
	v_fmac_f32_e32 v0, 0x3f737871, v12
	v_dual_add_f32 v12, v27, v29 :: v_dual_fmac_f32 v21, 0x3f167918, v8
	s_delay_alu instid0(VALU_DEP_2) | instskip(NEXT) | instid1(VALU_DEP_2)
	v_fmac_f32_e32 v0, 0xbf167918, v8
	v_add_f32_e32 v8, v12, v33
	v_fmac_f32_e32 v17, 0x3e9e377a, v13
	v_add_f32_e32 v9, v9, v26
	v_fma_f32 v26, -0.5, v30, v1
	v_add_f32_e32 v12, v25, v37
	v_sub_f32_e32 v24, v24, v36
	v_dual_fmac_f32 v20, 0x3e9e377a, v13 :: v_dual_sub_f32 v13, v28, v32
	v_fmac_f32_e32 v21, 0x3e9e377a, v9
	s_delay_alu instid0(VALU_DEP_3) | instskip(SKIP_2) | instid1(VALU_DEP_2)
	v_dual_sub_f32 v28, v25, v29 :: v_dual_fmamk_f32 v27, v24, 0xbf737871, v26
	v_dual_sub_f32 v30, v37, v33 :: v_dual_fmac_f32 v1, -0.5, v12
	v_dual_add_f32 v31, v8, v37 :: v_dual_fmac_f32 v26, 0x3f737871, v24
	v_dual_fmac_f32 v27, 0xbf167918, v13 :: v_dual_add_f32 v8, v28, v30
	v_fmac_f32_e32 v0, 0x3e9e377a, v9
	s_delay_alu instid0(VALU_DEP_4)
	v_fmamk_f32 v28, v13, 0x3f737871, v1
	v_sub_f32_e32 v9, v29, v25
	v_add_f32_e32 v25, v6, v18
	v_fmac_f32_e32 v1, 0xbf737871, v13
	v_dual_sub_f32 v12, v33, v37 :: v_dual_fmac_f32 v27, 0x3e9e377a, v8
	v_sub_f32_e32 v33, v14, v10
	s_delay_alu instid0(VALU_DEP_3) | instskip(NEXT) | instid1(VALU_DEP_3)
	v_dual_fmac_f32 v1, 0x3f167918, v24 :: v_dual_fmac_f32 v26, 0x3f167918, v13
	v_add_f32_e32 v9, v9, v12
	v_add_f32_e32 v12, v25, v22
	s_delay_alu instid0(VALU_DEP_3) | instskip(NEXT) | instid1(VALU_DEP_3)
	v_dual_add_f32 v13, v22, v14 :: v_dual_fmac_f32 v26, 0x3e9e377a, v8
	v_fmac_f32_e32 v1, 0x3e9e377a, v9
	s_delay_alu instid0(VALU_DEP_2) | instskip(NEXT) | instid1(VALU_DEP_4)
	v_fma_f32 v13, -0.5, v13, v6
	v_add_f32_e32 v8, v12, v14
	v_fmac_f32_e32 v28, 0xbf167918, v24
	v_sub_f32_e32 v24, v19, v11
	s_delay_alu instid0(VALU_DEP_1) | instskip(SKIP_1) | instid1(VALU_DEP_4)
	v_dual_add_f32 v12, v18, v10 :: v_dual_fmamk_f32 v29, v24, 0x3f737871, v13
	v_fmac_f32_e32 v13, 0xbf737871, v24
	v_dual_add_f32 v25, v8, v10 :: v_dual_fmac_f32 v28, 0x3e9e377a, v9
	s_delay_alu instid0(VALU_DEP_3) | instskip(SKIP_2) | instid1(VALU_DEP_1)
	v_fma_f32 v9, -0.5, v12, v6
	v_sub_f32_e32 v6, v18, v22
	v_sub_f32_e32 v12, v10, v14
	v_add_f32_e32 v6, v6, v12
	v_sub_f32_e32 v8, v23, v15
	s_delay_alu instid0(VALU_DEP_1) | instskip(NEXT) | instid1(VALU_DEP_1)
	v_fmac_f32_e32 v29, 0x3f167918, v8
	v_fmac_f32_e32 v29, 0x3e9e377a, v6
	v_fmamk_f32 v30, v8, 0xbf737871, v9
	v_dual_fmac_f32 v9, 0x3f737871, v8 :: v_dual_sub_f32 v32, v22, v18
	v_fmac_f32_e32 v13, 0xbf167918, v8
	s_delay_alu instid0(VALU_DEP_2) | instskip(NEXT) | instid1(VALU_DEP_2)
	v_dual_fmac_f32 v9, 0xbf167918, v24 :: v_dual_add_f32 v12, v32, v33
	v_dual_fmac_f32 v13, 0x3e9e377a, v6 :: v_dual_add_f32 v8, v19, v11
	s_delay_alu instid0(VALU_DEP_2) | instskip(NEXT) | instid1(VALU_DEP_2)
	v_dual_fmac_f32 v9, 0x3e9e377a, v12 :: v_dual_add_f32 v6, v23, v15
	v_mul_f32_e32 v34, 0xbf4f1bbd, v13
	s_delay_alu instid0(VALU_DEP_2) | instskip(SKIP_4) | instid1(VALU_DEP_1)
	v_fma_f32 v32, -0.5, v6, v7
	v_sub_f32_e32 v6, v18, v10
	v_fmac_f32_e32 v30, 0x3f167918, v24
	v_sub_f32_e32 v10, v22, v14
	v_dual_add_f32 v24, v7, v19 :: v_dual_fmac_f32 v7, -0.5, v8
	v_fmamk_f32 v22, v10, 0x3f737871, v7
	v_fmac_f32_e32 v7, 0xbf737871, v10
	s_delay_alu instid0(VALU_DEP_1) | instskip(SKIP_4) | instid1(VALU_DEP_1)
	v_fmac_f32_e32 v7, 0x3f167918, v6
	v_fmac_f32_e32 v30, 0x3e9e377a, v12
	v_sub_f32_e32 v12, v19, v23
	v_sub_f32_e32 v14, v23, v19
	;; [unrolled: 1-line block ×3, first 2 shown]
	v_dual_add_f32 v14, v14, v19 :: v_dual_mul_f32 v19, 0x3f4f1bbd, v29
	v_dual_fmac_f32 v22, 0xbf167918, v6 :: v_dual_mul_f32 v29, 0xbf167918, v29
	s_delay_alu instid0(VALU_DEP_2) | instskip(NEXT) | instid1(VALU_DEP_2)
	v_fmac_f32_e32 v7, 0x3e9e377a, v14
	v_fmac_f32_e32 v22, 0x3e9e377a, v14
	v_add_f32_e32 v8, v24, v23
	s_delay_alu instid0(VALU_DEP_3) | instskip(SKIP_1) | instid1(VALU_DEP_2)
	v_dual_mul_f32 v24, 0xbe9e377a, v9 :: v_dual_mul_f32 v35, 0xbe9e377a, v7
	v_dual_fmamk_f32 v18, v6, 0xbf737871, v32 :: v_dual_sub_f32 v23, v11, v15
	v_fmac_f32_e32 v35, 0xbf737871, v9
	v_fmac_f32_e32 v32, 0x3f737871, v6
	s_delay_alu instid0(VALU_DEP_3) | instskip(SKIP_2) | instid1(VALU_DEP_4)
	v_dual_add_f32 v12, v12, v23 :: v_dual_mul_f32 v23, 0x3f737871, v22
	v_add_f32_e32 v6, v8, v15
	v_fmac_f32_e32 v18, 0xbf167918, v10
	v_fmac_f32_e32 v32, 0x3f167918, v10
	s_delay_alu instid0(VALU_DEP_4) | instskip(NEXT) | instid1(VALU_DEP_4)
	v_fmac_f32_e32 v23, 0x3e9e377a, v30
	v_dual_add_f32 v33, v6, v11 :: v_dual_mul_f32 v30, 0xbf737871, v30
	s_delay_alu instid0(VALU_DEP_3) | instskip(SKIP_1) | instid1(VALU_DEP_4)
	v_fmac_f32_e32 v32, 0x3e9e377a, v12
	v_add_f32_e32 v6, v16, v25
	v_add_f32_e32 v10, v21, v23
	v_sub_f32_e32 v16, v16, v25
	s_delay_alu instid0(VALU_DEP_4) | instskip(SKIP_1) | instid1(VALU_DEP_2)
	v_fmac_f32_e32 v34, 0x3f167918, v32
	v_mul_f32_e32 v32, 0xbf4f1bbd, v32
	v_add_f32_e32 v14, v17, v34
	s_delay_alu instid0(VALU_DEP_2) | instskip(SKIP_3) | instid1(VALU_DEP_4)
	v_fmac_f32_e32 v32, 0xbf167918, v13
	v_fmac_f32_e32 v24, 0x3f737871, v7
	v_add_f32_e32 v13, v1, v35
	v_add_f32_e32 v7, v31, v33
	v_sub_f32_e32 v25, v26, v32
	v_add_f32_e32 v15, v26, v32
	v_fmac_f32_e32 v18, 0x3e9e377a, v12
	s_delay_alu instid0(VALU_DEP_1) | instskip(NEXT) | instid1(VALU_DEP_1)
	v_dual_add_f32 v12, v0, v24 :: v_dual_fmac_f32 v19, 0x3f167918, v18
	v_dual_fmac_f32 v29, 0x3f4f1bbd, v18 :: v_dual_add_f32 v8, v20, v19
	v_sub_f32_e32 v18, v20, v19
	v_sub_f32_e32 v20, v21, v23
	v_mul_lo_u16 v21, v56, 10
	s_delay_alu instid0(VALU_DEP_4) | instskip(SKIP_1) | instid1(VALU_DEP_3)
	v_dual_sub_f32 v19, v27, v29 :: v_dual_fmac_f32 v30, 0x3e9e377a, v22
	v_dual_sub_f32 v22, v0, v24 :: v_dual_sub_f32 v23, v1, v35
	v_and_b32_e32 v0, 0xffff, v21
	v_mul_u32_u24_e32 v1, 10, v63
	v_add_f32_e32 v9, v27, v29
	v_add_f32_e32 v11, v28, v30
	v_sub_f32_e32 v24, v17, v34
	v_lshl_add_u32 v198, v0, 3, v62
	v_mul_u32_u24_e32 v0, 10, v64
	v_sub_f32_e32 v17, v31, v33
	v_sub_f32_e32 v21, v28, v30
	ds_store_b128 v198, v[44:47]
	ds_store_b128 v198, v[57:60] offset:16
	v_lshl_add_u32 v200, v0, 3, v62
	ds_store_b128 v198, v[38:41] offset:32
	ds_store_b128 v198, v[48:51] offset:48
	;; [unrolled: 1-line block ×3, first 2 shown]
	v_lshl_add_u32 v199, v1, 3, v62
	ds_store_b128 v200, v[2:5]
	ds_store_b128 v200, v[65:68] offset:16
	ds_store_b128 v200, v[73:76] offset:32
	;; [unrolled: 1-line block ×4, first 2 shown]
	ds_store_b128 v199, v[6:9]
	ds_store_b128 v199, v[10:13] offset:16
	ds_store_b128 v199, v[14:17] offset:32
	ds_store_b128 v199, v[18:21] offset:48
	ds_store_b128 v199, v[22:25] offset:64
	v_lshlrev_b32_e32 v0, 5, v196
	v_add_co_u32 v73, null, v196, 20
	global_wb scope:SCOPE_SE
	s_wait_dscnt 0x0
	s_barrier_signal -1
	s_barrier_wait -1
	global_inv scope:SCOPE_SE
	global_load_b128 v[4:7], v0, s[10:11]
	v_and_b32_e32 v12, 0xff, v73
	v_add_co_u32 v74, null, v196, 25
	v_lshlrev_b32_e32 v1, 5, v64
	s_clause 0x2
	global_load_b128 v[16:19], v0, s[10:11] offset:16
	global_load_b128 v[8:11], v1, s[10:11]
	global_load_b128 v[0:3], v1, s[10:11] offset:16
	v_mul_lo_u16 v12, 0xcd, v12
	v_and_b32_e32 v13, 0xff, v74
	v_lshlrev_b32_e32 v75, 4, v196
	s_delay_alu instid0(VALU_DEP_3) | instskip(NEXT) | instid1(VALU_DEP_1)
	v_lshrrev_b16 v12, 11, v12
	v_mul_lo_u16 v12, v12, 10
	s_delay_alu instid0(VALU_DEP_1) | instskip(SKIP_1) | instid1(VALU_DEP_2)
	v_sub_nc_u16 v66, v73, v12
	v_mul_lo_u16 v12, 0xcd, v13
	v_lshlrev_b16 v13, 2, v66
	s_delay_alu instid0(VALU_DEP_2) | instskip(NEXT) | instid1(VALU_DEP_2)
	v_lshrrev_b16 v12, 11, v12
	v_and_b32_e32 v13, 0xfc, v13
	s_delay_alu instid0(VALU_DEP_2) | instskip(NEXT) | instid1(VALU_DEP_2)
	v_mul_lo_u16 v12, v12, 10
	v_lshlrev_b32_e32 v13, 3, v13
	s_delay_alu instid0(VALU_DEP_2) | instskip(SKIP_4) | instid1(VALU_DEP_1)
	v_sub_nc_u16 v65, v74, v12
	s_clause 0x1
	global_load_b128 v[28:31], v13, s[10:11]
	global_load_b128 v[24:27], v13, s[10:11] offset:16
	v_lshlrev_b16 v12, 2, v65
	v_and_b32_e32 v12, 0xfc, v12
	s_delay_alu instid0(VALU_DEP_1)
	v_lshlrev_b32_e32 v12, 3, v12
	s_clause 0x1
	global_load_b128 v[20:23], v12, s[10:11]
	global_load_b128 v[12:15], v12, s[10:11] offset:16
	ds_load_2addr_b64 v[44:47], v197 offset0:30 offset1:35
	ds_load_2addr_b64 v[48:51], v197 offset0:60 offset1:65
	;; [unrolled: 1-line block ×4, first 2 shown]
	ds_load_2addr_b64 v[40:43], v197 offset1:5
	ds_load_2addr_b64 v[36:39], v197 offset0:10 offset1:15
	ds_load_2addr_b64 v[67:70], v197 offset0:40 offset1:45
	ds_load_2addr_b64 v[76:79], v197 offset0:70 offset1:75
	ds_load_2addr_b64 v[80:83], v197 offset0:100 offset1:105
	ds_load_2addr_b64 v[84:87], v197 offset0:130 offset1:135
	ds_load_2addr_b64 v[32:35], v197 offset0:20 offset1:25
	ds_load_2addr_b64 v[88:91], v197 offset0:50 offset1:55
	ds_load_2addr_b64 v[92:95], v197 offset0:80 offset1:85
	ds_load_2addr_b64 v[96:99], v197 offset0:110 offset1:115
	ds_load_2addr_b64 v[100:103], v197 offset0:140 offset1:145
	global_wb scope:SCOPE_SE
	s_wait_loadcnt_dscnt 0x0
	s_barrier_signal -1
	s_barrier_wait -1
	global_inv scope:SCOPE_SE
	v_mul_f32_e32 v61, v44, v5
	v_dual_mul_f32 v60, v45, v5 :: v_dual_mul_f32 v117, v76, v7
	v_mul_f32_e32 v104, v48, v7
	v_mul_f32_e32 v71, v49, v7
	s_delay_alu instid0(VALU_DEP_4)
	v_fmac_f32_e32 v61, v45, v4
	v_mul_f32_e32 v105, v53, v17
	v_fmac_f32_e32 v117, v77, v6
	v_mul_f32_e32 v107, v57, v19
	v_mul_f32_e32 v113, v55, v1
	v_dual_mul_f32 v45, v68, v5 :: v_dual_fmac_f32 v104, v49, v6
	v_mul_f32_e32 v123, v78, v11
	v_fma_f32 v49, v52, v16, -v105
	v_mul_f32_e32 v119, v84, v19
	v_mul_f32_e32 v106, v52, v17
	v_fma_f32 v52, v56, v18, -v107
	v_fma_f32 v107, v54, v0, -v113
	;; [unrolled: 1-line block ×3, first 2 shown]
	v_fmac_f32_e32 v119, v85, v18
	v_mul_f32_e32 v45, v85, v19
	v_dual_mul_f32 v108, v56, v19 :: v_dual_fmac_f32 v123, v79, v10
	v_mul_f32_e32 v112, v50, v11
	v_dual_fmac_f32 v106, v53, v16 :: v_dual_mul_f32 v127, v82, v1
	s_delay_alu instid0(VALU_DEP_4) | instskip(SKIP_2) | instid1(VALU_DEP_4)
	v_fma_f32 v121, v84, v18, -v45
	v_dual_mul_f32 v45, v79, v11 :: v_dual_mul_f32 v110, v46, v9
	v_fma_f32 v60, v44, v4, -v60
	v_dual_fmac_f32 v127, v83, v0 :: v_dual_fmac_f32 v108, v57, v18
	v_mul_f32_e32 v44, v59, v3
	s_delay_alu instid0(VALU_DEP_4)
	v_fma_f32 v125, v78, v10, -v45
	v_fmac_f32_e32 v110, v47, v8
	v_mul_f32_e32 v109, v47, v9
	v_mul_f32_e32 v111, v51, v11
	v_fma_f32 v115, v48, v6, -v71
	v_dual_add_f32 v47, v40, v60 :: v_dual_mul_f32 v122, v69, v9
	s_delay_alu instid0(VALU_DEP_4) | instskip(NEXT) | instid1(VALU_DEP_4)
	v_fma_f32 v57, v46, v8, -v109
	v_fma_f32 v105, v50, v10, -v111
	s_delay_alu instid0(VALU_DEP_4)
	v_dual_mul_f32 v111, v67, v5 :: v_dual_sub_f32 v48, v60, v115
	v_mul_f32_e32 v45, v89, v29
	v_mul_f32_e32 v79, v88, v29
	v_mul_f32_e32 v114, v54, v1
	v_mul_f32_e32 v118, v80, v17
	v_fmac_f32_e32 v112, v51, v10
	v_fma_f32 v85, v88, v28, -v45
	v_fmac_f32_e32 v79, v89, v28
	v_fmac_f32_e32 v114, v55, v0
	v_fma_f32 v55, v58, v2, -v44
	v_mul_f32_e32 v44, v81, v17
	v_mul_f32_e32 v45, v97, v25
	v_sub_f32_e32 v51, v61, v108
	v_fmac_f32_e32 v118, v81, v16
	v_sub_f32_e32 v50, v52, v49
	v_add_f32_e32 v53, v60, v52
	v_fma_f32 v84, v96, v24, -v45
	v_mul_f32_e32 v45, v95, v23
	v_fma_f32 v120, v80, v16, -v44
	v_mul_f32_e32 v44, v70, v9
	v_dual_mul_f32 v67, v90, v21 :: v_dual_mul_f32 v46, v77, v7
	v_mul_f32_e32 v71, v102, v15
	v_mul_f32_e32 v128, v86, v3
	s_delay_alu instid0(VALU_DEP_4)
	v_fma_f32 v124, v69, v8, -v44
	v_fma_f32 v69, v94, v22, -v45
	v_mul_f32_e32 v45, v99, v13
	v_fmac_f32_e32 v71, v103, v14
	v_mul_f32_e32 v44, v87, v3
	v_fmac_f32_e32 v67, v91, v20
	v_fma_f32 v116, v76, v6, -v46
	v_fma_f32 v77, v98, v12, -v45
	v_dual_add_f32 v45, v47, v115 :: v_dual_fmac_f32 v122, v70, v8
	v_fma_f32 v129, v86, v2, -v44
	v_mul_f32_e32 v44, v93, v31
	v_dual_mul_f32 v46, v83, v1 :: v_dual_sub_f32 v47, v104, v106
	s_delay_alu instid0(VALU_DEP_4) | instskip(SKIP_1) | instid1(VALU_DEP_3)
	v_dual_add_f32 v45, v45, v49 :: v_dual_add_f32 v54, v48, v50
	v_fmac_f32_e32 v128, v87, v2
	v_fma_f32 v126, v82, v0, -v46
	v_dual_add_f32 v56, v41, v61 :: v_dual_sub_f32 v87, v55, v107
	s_delay_alu instid0(VALU_DEP_4)
	v_add_f32_e32 v50, v45, v52
	v_sub_f32_e32 v45, v115, v60
	v_fma_f32 v83, v92, v30, -v44
	v_mul_f32_e32 v44, v91, v21
	v_mul_f32_e32 v46, v101, v27
	;; [unrolled: 1-line block ×3, first 2 shown]
	v_dual_fmac_f32 v111, v68, v4 :: v_dual_mul_f32 v68, v94, v23
	s_delay_alu instid0(VALU_DEP_4)
	v_fma_f32 v76, v90, v20, -v44
	v_add_f32_e32 v44, v115, v49
	v_fma_f32 v86, v100, v26, -v46
	v_mul_f32_e32 v46, v103, v15
	v_fmac_f32_e32 v109, v59, v2
	v_add_f32_e32 v59, v105, v107
	v_fma_f32 v44, -0.5, v44, v40
	v_fma_f32 v40, -0.5, v53, v40
	v_fma_f32 v78, v102, v14, -v46
	v_dual_sub_f32 v53, v49, v52 :: v_dual_mul_f32 v80, v92, v31
	s_delay_alu instid0(VALU_DEP_4) | instskip(SKIP_2) | instid1(VALU_DEP_4)
	v_fmamk_f32 v46, v51, 0x3f737871, v44
	v_fmac_f32_e32 v44, 0xbf737871, v51
	v_fmamk_f32 v48, v47, 0xbf737871, v40
	v_dual_fmac_f32 v40, 0x3f737871, v47 :: v_dual_add_f32 v53, v45, v53
	s_delay_alu instid0(VALU_DEP_4) | instskip(NEXT) | instid1(VALU_DEP_4)
	v_fmac_f32_e32 v46, 0x3f167918, v47
	v_dual_fmac_f32 v44, 0xbf167918, v47 :: v_dual_add_f32 v47, v56, v104
	v_sub_f32_e32 v56, v60, v52
	v_add_f32_e32 v58, v104, v106
	v_dual_add_f32 v52, v61, v108 :: v_dual_mul_f32 v81, v96, v25
	v_mul_f32_e32 v82, v100, v27
	v_fmac_f32_e32 v44, 0x3e9e377a, v54
	s_delay_alu instid0(VALU_DEP_4)
	v_fma_f32 v45, -0.5, v58, v41
	v_fmac_f32_e32 v80, v93, v30
	v_fmac_f32_e32 v40, 0xbf167918, v51
	v_sub_f32_e32 v58, v108, v106
	v_fma_f32 v41, -0.5, v52, v41
	v_sub_f32_e32 v52, v104, v61
	v_add_f32_e32 v60, v42, v57
	v_fmac_f32_e32 v46, 0x3e9e377a, v54
	v_dual_sub_f32 v54, v115, v49 :: v_dual_sub_f32 v49, v61, v104
	v_dual_fmac_f32 v68, v95, v22 :: v_dual_sub_f32 v61, v57, v105
	v_dual_fmac_f32 v48, 0x3f167918, v51 :: v_dual_add_f32 v89, v112, v114
	v_add_f32_e32 v51, v47, v106
	v_fmamk_f32 v47, v56, 0xbf737871, v45
	v_dual_fmac_f32 v45, 0x3f737871, v56 :: v_dual_mul_f32 v70, v98, v13
	s_delay_alu instid0(VALU_DEP_4) | instskip(SKIP_1) | instid1(VALU_DEP_4)
	v_fmac_f32_e32 v48, 0x3e9e377a, v53
	v_fmac_f32_e32 v40, 0x3e9e377a, v53
	;; [unrolled: 1-line block ×3, first 2 shown]
	v_add_f32_e32 v53, v49, v58
	v_dual_fmac_f32 v45, 0x3f167918, v54 :: v_dual_fmac_f32 v70, v99, v12
	v_fmamk_f32 v49, v54, 0x3f737871, v41
	s_delay_alu instid0(VALU_DEP_3) | instskip(NEXT) | instid1(VALU_DEP_3)
	v_dual_sub_f32 v58, v106, v108 :: v_dual_fmac_f32 v47, 0x3e9e377a, v53
	v_fmac_f32_e32 v45, 0x3e9e377a, v53
	v_fmac_f32_e32 v41, 0xbf737871, v54
	v_add_f32_e32 v53, v60, v105
	s_delay_alu instid0(VALU_DEP_4) | instskip(SKIP_2) | instid1(VALU_DEP_4)
	v_add_f32_e32 v58, v52, v58
	v_fma_f32 v52, -0.5, v59, v42
	v_dual_sub_f32 v59, v110, v109 :: v_dual_add_f32 v88, v57, v55
	v_add_f32_e32 v53, v53, v107
	v_fmac_f32_e32 v49, 0xbf167918, v56
	v_fmac_f32_e32 v41, 0x3f167918, v56
	v_add_f32_e32 v61, v61, v87
	v_dual_sub_f32 v87, v107, v55 :: v_dual_sub_f32 v60, v112, v114
	s_delay_alu instid0(VALU_DEP_4) | instskip(NEXT) | instid1(VALU_DEP_4)
	v_fmac_f32_e32 v49, 0x3e9e377a, v58
	v_dual_fmac_f32 v41, 0x3e9e377a, v58 :: v_dual_add_f32 v58, v53, v55
	v_sub_f32_e32 v53, v105, v57
	v_fma_f32 v42, -0.5, v88, v42
	v_dual_add_f32 v88, v43, v110 :: v_dual_add_f32 v91, v36, v113
	v_dual_add_f32 v90, v116, v120 :: v_dual_add_f32 v95, v117, v118
	s_delay_alu instid0(VALU_DEP_4)
	v_add_f32_e32 v87, v53, v87
	v_fma_f32 v53, -0.5, v89, v43
	v_dual_sub_f32 v89, v109, v114 :: v_dual_fmamk_f32 v54, v59, 0x3f737871, v52
	v_fmac_f32_e32 v52, 0xbf737871, v59
	v_fmamk_f32 v56, v60, 0xbf737871, v42
	v_fmac_f32_e32 v42, 0x3f737871, v60
	v_sub_f32_e32 v92, v117, v118
	v_fmac_f32_e32 v54, 0x3f167918, v60
	v_fmac_f32_e32 v52, 0xbf167918, v60
	v_add_f32_e32 v60, v88, v112
	v_fmac_f32_e32 v56, 0x3f167918, v59
	v_sub_f32_e32 v88, v57, v55
	v_dual_fmac_f32 v42, 0xbf167918, v59 :: v_dual_add_f32 v59, v110, v109
	s_delay_alu instid0(VALU_DEP_4) | instskip(SKIP_2) | instid1(VALU_DEP_4)
	v_dual_add_f32 v57, v60, v114 :: v_dual_sub_f32 v60, v110, v112
	v_fmac_f32_e32 v52, 0x3e9e377a, v61
	v_dual_fmac_f32 v56, 0x3e9e377a, v87 :: v_dual_sub_f32 v93, v121, v120
	v_fmac_f32_e32 v42, 0x3e9e377a, v87
	v_fmac_f32_e32 v43, -0.5, v59
	v_add_f32_e32 v87, v60, v89
	v_dual_fmac_f32 v54, 0x3e9e377a, v61 :: v_dual_sub_f32 v61, v105, v107
	v_add_f32_e32 v59, v57, v109
	v_sub_f32_e32 v89, v114, v109
	v_add_f32_e32 v94, v113, v121
	v_fmac_f32_e32 v81, v97, v24
	v_fmamk_f32 v57, v61, 0x3f737871, v43
	v_dual_fmac_f32 v43, 0xbf737871, v61 :: v_dual_sub_f32 v60, v112, v110
	v_sub_f32_e32 v97, v119, v118
	v_add_f32_e32 v99, v38, v124
	s_delay_alu instid0(VALU_DEP_4) | instskip(NEXT) | instid1(VALU_DEP_4)
	v_dual_fmac_f32 v57, 0xbf167918, v88 :: v_dual_sub_f32 v100, v123, v127
	v_add_f32_e32 v89, v60, v89
	v_fma_f32 v60, -0.5, v90, v36
	v_fma_f32 v36, -0.5, v94, v36
	v_add_f32_e32 v98, v125, v126
	v_dual_fmac_f32 v82, v101, v26 :: v_dual_add_f32 v51, v51, v108
	v_fmac_f32_e32 v57, 0x3e9e377a, v89
	v_fmamk_f32 v55, v88, 0xbf737871, v53
	v_fmac_f32_e32 v53, 0x3f737871, v88
	v_fmac_f32_e32 v43, 0x3f167918, v88
	v_sub_f32_e32 v101, v129, v126
	v_add_f32_e32 v103, v123, v127
	v_fmac_f32_e32 v55, 0xbf167918, v61
	v_fmac_f32_e32 v53, 0x3f167918, v61
	v_add_f32_e32 v61, v91, v116
	v_fmac_f32_e32 v43, 0x3e9e377a, v89
	v_sub_f32_e32 v91, v113, v116
	v_fmac_f32_e32 v55, 0x3e9e377a, v87
	v_fmac_f32_e32 v53, 0x3e9e377a, v87
	v_dual_add_f32 v61, v61, v120 :: v_dual_sub_f32 v104, v122, v123
	v_sub_f32_e32 v105, v128, v127
	v_add_f32_e32 v107, v32, v85
	v_sub_f32_e32 v109, v86, v84
	s_delay_alu instid0(VALU_DEP_4) | instskip(SKIP_3) | instid1(VALU_DEP_3)
	v_add_f32_e32 v89, v61, v121
	v_dual_sub_f32 v61, v116, v113 :: v_dual_sub_f32 v90, v111, v119
	v_dual_add_f32 v88, v91, v93 :: v_dual_fmamk_f32 v91, v92, 0xbf737871, v36
	v_dual_sub_f32 v93, v120, v121 :: v_dual_fmac_f32 v36, 0x3f737871, v92
	v_fmamk_f32 v87, v90, 0x3f737871, v60
	s_delay_alu instid0(VALU_DEP_2) | instskip(SKIP_1) | instid1(VALU_DEP_3)
	v_add_f32_e32 v93, v61, v93
	v_fma_f32 v61, -0.5, v95, v37
	v_fmac_f32_e32 v87, 0x3f167918, v92
	v_fmac_f32_e32 v60, 0xbf737871, v90
	v_dual_add_f32 v94, v37, v111 :: v_dual_fmac_f32 v91, 0x3f167918, v90
	v_fmac_f32_e32 v36, 0xbf167918, v90
	s_delay_alu instid0(VALU_DEP_4) | instskip(NEXT) | instid1(VALU_DEP_4)
	v_fmac_f32_e32 v87, 0x3e9e377a, v88
	v_fmac_f32_e32 v60, 0xbf167918, v92
	s_delay_alu instid0(VALU_DEP_4) | instskip(SKIP_2) | instid1(VALU_DEP_4)
	v_dual_add_f32 v92, v94, v117 :: v_dual_sub_f32 v95, v116, v120
	v_sub_f32_e32 v94, v113, v121
	v_sub_f32_e32 v96, v111, v117
	v_dual_fmac_f32 v60, 0x3e9e377a, v88 :: v_dual_fmac_f32 v91, 0x3e9e377a, v93
	ds_store_2addr_b64 v197, v[50:51], v[58:59] offset1:5
	ds_store_2addr_b64 v197, v[46:47], v[54:55] offset0:10 offset1:15
	ds_store_2addr_b64 v197, v[48:49], v[56:57] offset0:20 offset1:25
	;; [unrolled: 1-line block ×3, first 2 shown]
	v_and_b32_e32 v41, 0xff, v65
	v_add_f32_e32 v96, v96, v97
	v_dual_fmac_f32 v36, 0x3e9e377a, v93 :: v_dual_sub_f32 v93, v117, v111
	v_sub_f32_e32 v97, v118, v119
	v_fmamk_f32 v88, v94, 0xbf737871, v61
	v_fmac_f32_e32 v61, 0x3f737871, v94
	v_add_f32_e32 v90, v92, v118
	s_delay_alu instid0(VALU_DEP_4) | instskip(NEXT) | instid1(VALU_DEP_4)
	v_dual_add_f32 v92, v111, v119 :: v_dual_add_f32 v97, v93, v97
	v_fmac_f32_e32 v88, 0xbf167918, v95
	s_delay_alu instid0(VALU_DEP_4) | instskip(SKIP_1) | instid1(VALU_DEP_4)
	v_fmac_f32_e32 v61, 0x3f167918, v95
	v_fma_f32 v93, -0.5, v98, v38
	v_fma_f32 v37, -0.5, v92, v37
	v_dual_add_f32 v90, v90, v119 :: v_dual_add_f32 v111, v80, v81
	v_and_b32_e32 v40, 0xff, v66
	v_lshl_add_u32 v201, v41, 3, v62
	s_delay_alu instid0(VALU_DEP_4) | instskip(SKIP_3) | instid1(VALU_DEP_4)
	v_fmamk_f32 v92, v95, 0x3f737871, v37
	v_dual_fmac_f32 v37, 0xbf737871, v95 :: v_dual_sub_f32 v98, v122, v128
	v_fmac_f32_e32 v61, 0x3e9e377a, v96
	v_lshl_add_u32 v202, v40, 3, v62
	v_fmac_f32_e32 v92, 0xbf167918, v94
	s_delay_alu instid0(VALU_DEP_4) | instskip(SKIP_4) | instid1(VALU_DEP_3)
	v_fmac_f32_e32 v37, 0x3f167918, v94
	v_fmac_f32_e32 v88, 0x3e9e377a, v96
	v_dual_add_f32 v96, v99, v125 :: v_dual_fmamk_f32 v95, v98, 0x3f737871, v93
	v_dual_fmac_f32 v93, 0xbf737871, v98 :: v_dual_add_f32 v102, v124, v129
	v_sub_f32_e32 v99, v124, v125
	v_dual_add_f32 v94, v96, v126 :: v_dual_fmac_f32 v95, 0x3f167918, v100
	s_delay_alu instid0(VALU_DEP_3) | instskip(NEXT) | instid1(VALU_DEP_4)
	v_fmac_f32_e32 v93, 0xbf167918, v100
	v_fma_f32 v38, -0.5, v102, v38
	s_delay_alu instid0(VALU_DEP_4) | instskip(SKIP_2) | instid1(VALU_DEP_4)
	v_add_f32_e32 v96, v99, v101
	v_fmac_f32_e32 v37, 0x3e9e377a, v97
	v_sub_f32_e32 v101, v126, v129
	v_fmamk_f32 v99, v100, 0xbf737871, v38
	s_delay_alu instid0(VALU_DEP_4) | instskip(SKIP_1) | instid1(VALU_DEP_3)
	v_dual_fmac_f32 v92, 0x3e9e377a, v97 :: v_dual_fmac_f32 v95, 0x3e9e377a, v96
	v_dual_add_f32 v97, v94, v129 :: v_dual_sub_f32 v94, v125, v124
	v_fmac_f32_e32 v99, 0x3f167918, v98
	v_add_f32_e32 v102, v39, v122
	v_fmac_f32_e32 v38, 0x3f737871, v100
	v_fmac_f32_e32 v93, 0x3e9e377a, v96
	v_add_f32_e32 v101, v94, v101
	v_fma_f32 v94, -0.5, v103, v39
	v_dual_sub_f32 v103, v125, v126 :: v_dual_add_f32 v100, v102, v123
	v_fmac_f32_e32 v38, 0xbf167918, v98
	s_delay_alu instid0(VALU_DEP_4) | instskip(SKIP_1) | instid1(VALU_DEP_4)
	v_fmac_f32_e32 v99, 0x3e9e377a, v101
	v_dual_add_f32 v104, v104, v105 :: v_dual_sub_f32 v105, v127, v128
	v_add_f32_e32 v98, v100, v127
	v_add_f32_e32 v100, v122, v128
	v_sub_f32_e32 v102, v124, v129
	v_dual_fmac_f32 v38, 0x3e9e377a, v101 :: v_dual_sub_f32 v101, v123, v122
	s_delay_alu instid0(VALU_DEP_4) | instskip(NEXT) | instid1(VALU_DEP_3)
	v_add_f32_e32 v98, v98, v128
	v_dual_fmac_f32 v39, -0.5, v100 :: v_dual_fmamk_f32 v96, v102, 0xbf737871, v94
	ds_store_2addr_b64 v197, v[44:45], v[52:53] offset0:40 offset1:45
	ds_store_2addr_b64 v197, v[89:90], v[97:98] offset0:50 offset1:55
	v_dual_add_f32 v105, v101, v105 :: v_dual_fmamk_f32 v100, v103, 0x3f737871, v39
	v_dual_fmac_f32 v39, 0xbf737871, v103 :: v_dual_add_f32 v106, v83, v84
	v_fmac_f32_e32 v96, 0xbf167918, v103
	s_delay_alu instid0(VALU_DEP_2) | instskip(NEXT) | instid1(VALU_DEP_3)
	v_fmac_f32_e32 v39, 0x3f167918, v102
	v_fma_f32 v101, -0.5, v106, v32
	v_sub_f32_e32 v106, v79, v82
	v_fmac_f32_e32 v94, 0x3f737871, v102
	v_sub_f32_e32 v108, v80, v81
	v_add_f32_e32 v110, v85, v86
	v_dual_fmac_f32 v96, 0x3e9e377a, v104 :: v_dual_fmac_f32 v39, 0x3e9e377a, v105
	s_delay_alu instid0(VALU_DEP_4) | instskip(SKIP_1) | instid1(VALU_DEP_4)
	v_fmac_f32_e32 v94, 0x3f167918, v103
	v_fmamk_f32 v103, v106, 0x3f737871, v101
	v_fma_f32 v32, -0.5, v110, v32
	v_fmac_f32_e32 v101, 0xbf737871, v106
	v_fmac_f32_e32 v100, 0xbf167918, v102
	s_delay_alu instid0(VALU_DEP_4)
	v_dual_add_f32 v110, v33, v79 :: v_dual_fmac_f32 v103, 0x3f167918, v108
	v_fmac_f32_e32 v94, 0x3e9e377a, v104
	v_add_f32_e32 v104, v107, v83
	v_sub_f32_e32 v107, v85, v83
	ds_store_2addr_b64 v197, v[87:88], v[95:96] offset0:60 offset1:65
	v_add_f32_e32 v102, v104, v84
	v_dual_add_f32 v104, v107, v109 :: v_dual_fmamk_f32 v107, v108, 0xbf737871, v32
	v_sub_f32_e32 v109, v84, v86
	s_delay_alu instid0(VALU_DEP_2) | instskip(NEXT) | instid1(VALU_DEP_3)
	v_fmac_f32_e32 v103, 0x3e9e377a, v104
	v_fmac_f32_e32 v107, 0x3f167918, v106
	;; [unrolled: 1-line block ×4, first 2 shown]
	v_dual_fmac_f32 v100, 0x3e9e377a, v105 :: v_dual_add_f32 v105, v102, v86
	v_dual_sub_f32 v102, v83, v85 :: v_dual_sub_f32 v85, v85, v86
	s_delay_alu instid0(VALU_DEP_4)
	v_dual_fmac_f32 v32, 0xbf167918, v106 :: v_dual_sub_f32 v83, v83, v84
	v_add_f32_e32 v106, v79, v82
	v_dual_sub_f32 v84, v79, v80 :: v_dual_sub_f32 v79, v80, v79
	v_fmac_f32_e32 v101, 0x3e9e377a, v104
	v_add_f32_e32 v109, v102, v109
	v_fma_f32 v102, -0.5, v111, v33
	v_fma_f32 v33, -0.5, v106, v33
	v_add_f32_e32 v108, v110, v80
	v_sub_f32_e32 v80, v81, v82
	ds_store_2addr_b64 v197, v[91:92], v[99:100] offset0:70 offset1:75
	ds_store_2addr_b64 v197, v[36:37], v[38:39] offset0:80 offset1:85
	v_fmamk_f32 v104, v85, 0xbf737871, v102
	v_fmac_f32_e32 v107, 0x3e9e377a, v109
	v_add_f32_e32 v86, v108, v81
	v_add_f32_e32 v80, v79, v80
	v_dual_fmac_f32 v32, 0x3e9e377a, v109 :: v_dual_add_f32 v109, v76, v78
	v_fmac_f32_e32 v104, 0xbf167918, v83
	s_delay_alu instid0(VALU_DEP_4) | instskip(SKIP_3) | instid1(VALU_DEP_1)
	v_add_f32_e32 v106, v86, v82
	v_sub_f32_e32 v86, v67, v71
	v_sub_f32_e32 v108, v82, v81
	v_dual_add_f32 v81, v69, v77 :: v_dual_add_f32 v82, v34, v76
	v_fma_f32 v79, -0.5, v81, v34
	s_delay_alu instid0(VALU_DEP_2) | instskip(SKIP_2) | instid1(VALU_DEP_4)
	v_add_f32_e32 v82, v82, v69
	v_fma_f32 v34, -0.5, v109, v34
	v_sub_f32_e32 v109, v77, v78
	v_fmamk_f32 v81, v86, 0x3f737871, v79
	v_dual_fmac_f32 v79, 0xbf737871, v86 :: v_dual_add_f32 v84, v84, v108
	v_fmamk_f32 v108, v83, 0x3f737871, v33
	v_dual_fmac_f32 v33, 0xbf737871, v83 :: v_dual_add_f32 v82, v82, v77
	v_fmac_f32_e32 v102, 0x3f737871, v85
	s_delay_alu instid0(VALU_DEP_3) | instskip(NEXT) | instid1(VALU_DEP_3)
	v_fmac_f32_e32 v108, 0xbf167918, v85
	v_fmac_f32_e32 v33, 0x3f167918, v85
	s_delay_alu instid0(VALU_DEP_3) | instskip(SKIP_1) | instid1(VALU_DEP_1)
	v_dual_sub_f32 v85, v78, v77 :: v_dual_fmac_f32 v102, 0x3f167918, v83
	v_sub_f32_e32 v83, v76, v69
	v_dual_add_f32 v85, v83, v85 :: v_dual_fmac_f32 v104, 0x3e9e377a, v84
	s_delay_alu instid0(VALU_DEP_3) | instskip(SKIP_3) | instid1(VALU_DEP_2)
	v_dual_fmac_f32 v102, 0x3e9e377a, v84 :: v_dual_add_f32 v83, v82, v78
	v_sub_f32_e32 v82, v69, v76
	v_dual_sub_f32 v69, v69, v77 :: v_dual_sub_f32 v84, v68, v70
	v_sub_f32_e32 v76, v76, v78
	v_dual_add_f32 v78, v82, v109 :: v_dual_fmac_f32 v81, 0x3f167918, v84
	v_fmac_f32_e32 v79, 0xbf167918, v84
	s_delay_alu instid0(VALU_DEP_2) | instskip(NEXT) | instid1(VALU_DEP_2)
	v_fmac_f32_e32 v81, 0x3e9e377a, v85
	v_fmac_f32_e32 v79, 0x3e9e377a, v85
	v_fmamk_f32 v85, v84, 0xbf737871, v34
	v_fmac_f32_e32 v34, 0x3f737871, v84
	v_dual_add_f32 v84, v35, v67 :: v_dual_fmac_f32 v33, 0x3e9e377a, v80
	s_delay_alu instid0(VALU_DEP_3) | instskip(NEXT) | instid1(VALU_DEP_3)
	v_fmac_f32_e32 v85, 0x3f167918, v86
	v_fmac_f32_e32 v34, 0xbf167918, v86
	s_delay_alu instid0(VALU_DEP_3) | instskip(NEXT) | instid1(VALU_DEP_3)
	v_add_f32_e32 v84, v84, v68
	v_dual_add_f32 v86, v67, v71 :: v_dual_fmac_f32 v85, 0x3e9e377a, v78
	s_delay_alu instid0(VALU_DEP_3) | instskip(NEXT) | instid1(VALU_DEP_3)
	v_fmac_f32_e32 v34, 0x3e9e377a, v78
	v_dual_add_f32 v77, v84, v70 :: v_dual_fmac_f32 v108, 0x3e9e377a, v80
	v_dual_sub_f32 v78, v67, v68 :: v_dual_sub_f32 v67, v68, v67
	v_add_f32_e32 v80, v68, v70
	v_sub_f32_e32 v68, v70, v71
	v_sub_f32_e32 v84, v71, v70
	s_delay_alu instid0(VALU_DEP_2) | instskip(NEXT) | instid1(VALU_DEP_4)
	v_add_f32_e32 v67, v67, v68
	v_fma_f32 v80, -0.5, v80, v35
	s_delay_alu instid0(VALU_DEP_3) | instskip(SKIP_1) | instid1(VALU_DEP_3)
	v_dual_fmac_f32 v35, -0.5, v86 :: v_dual_add_f32 v70, v78, v84
	v_add_f32_e32 v84, v77, v71
	v_fmamk_f32 v82, v76, 0xbf737871, v80
	v_fmac_f32_e32 v80, 0x3f737871, v76
	s_delay_alu instid0(VALU_DEP_4) | instskip(SKIP_1) | instid1(VALU_DEP_4)
	v_fmamk_f32 v86, v69, 0x3f737871, v35
	v_fmac_f32_e32 v35, 0xbf737871, v69
	v_fmac_f32_e32 v82, 0xbf167918, v69
	s_delay_alu instid0(VALU_DEP_4) | instskip(NEXT) | instid1(VALU_DEP_4)
	v_fmac_f32_e32 v80, 0x3f167918, v69
	v_fmac_f32_e32 v86, 0xbf167918, v76
	s_delay_alu instid0(VALU_DEP_4) | instskip(NEXT) | instid1(VALU_DEP_4)
	;; [unrolled: 3-line block ×3, first 2 shown]
	v_fmac_f32_e32 v80, 0x3e9e377a, v70
	v_fmac_f32_e32 v86, 0x3e9e377a, v67
	s_delay_alu instid0(VALU_DEP_4)
	v_fmac_f32_e32 v35, 0x3e9e377a, v67
	ds_store_2addr_b64 v197, v[60:61], v[93:94] offset0:90 offset1:95
	ds_store_2addr_b64 v202, v[105:106], v[103:104] offset0:100 offset1:110
	;; [unrolled: 1-line block ×3, first 2 shown]
	ds_store_b64 v202, v[101:102] offset:1120
	ds_store_2addr_b64 v201, v[83:84], v[81:82] offset0:100 offset1:110
	ds_store_2addr_b64 v201, v[85:86], v[34:35] offset0:120 offset1:130
	ds_store_b64 v201, v[79:80] offset:1120
	v_lshlrev_b32_e32 v32, 4, v64
	global_wb scope:SCOPE_SE
	s_wait_dscnt 0x0
	s_barrier_signal -1
	s_barrier_wait -1
	global_inv scope:SCOPE_SE
	s_clause 0x1
	global_load_b128 v[68:71], v75, s[10:11] offset:320
	global_load_b128 v[64:67], v32, s[10:11] offset:320
	v_lshlrev_b32_e32 v32, 4, v63
	global_load_b128 v[60:63], v32, s[10:11] offset:320
	v_add_nc_u32_e32 v32, 0xf0, v75
	global_load_b128 v[56:59], v32, s[10:11] offset:320
	v_lshlrev_b32_e32 v32, 4, v73
	global_load_b128 v[52:55], v32, s[10:11] offset:320
	v_lshlrev_b32_e32 v32, 4, v74
	global_load_b128 v[48:51], v32, s[10:11] offset:320
	v_add_nc_u32_e32 v32, 0x1e0, v75
	global_load_b128 v[44:47], v32, s[10:11] offset:320
	v_add_nc_u32_e32 v32, 0x230, v75
	global_load_b128 v[40:43], v32, s[10:11] offset:320
	v_lshlrev_b32_e32 v32, 4, v193
	global_load_b128 v[36:39], v32, s[10:11] offset:320
	v_add_nc_u32_e32 v32, 0x2d0, v75
	global_load_b128 v[32:35], v32, s[10:11] offset:320
	ds_load_2addr_b64 v[73:76], v197 offset0:50 offset1:55
	ds_load_2addr_b64 v[77:80], v197 offset0:100 offset1:105
	ds_load_2addr_b64 v[81:84], v197 offset1:5
	ds_load_2addr_b64 v[85:88], v197 offset0:10 offset1:15
	ds_load_2addr_b64 v[89:92], v197 offset0:60 offset1:65
	;; [unrolled: 1-line block ×12, first 2 shown]
	s_wait_loadcnt_dscnt 0x90e
	v_mul_f32_e32 v130, v73, v69
	v_mul_f32_e32 v129, v74, v69
	s_wait_dscnt 0xd
	v_mul_f32_e32 v131, v78, v71
	v_mul_f32_e32 v207, v77, v71
	s_wait_loadcnt 0x8
	v_dual_mul_f32 v209, v79, v67 :: v_dual_fmac_f32 v130, v74, v68
	v_mul_f32_e32 v74, v80, v67
	v_fma_f32 v129, v73, v68, -v129
	v_mul_f32_e32 v73, v76, v65
	v_fma_f32 v77, v77, v70, -v131
	s_wait_loadcnt_dscnt 0x70a
	v_mul_f32_e32 v211, v89, v61
	v_fma_f32 v210, v79, v66, -v74
	s_wait_dscnt 0x9
	v_mul_f32_e32 v74, v94, v63
	v_fma_f32 v208, v75, v64, -v73
	v_mul_f32_e32 v73, v90, v61
	s_wait_loadcnt 0x6
	v_dual_fmac_f32 v211, v90, v60 :: v_dual_mul_f32 v214, v91, v57
	v_fma_f32 v90, v93, v62, -v74
	v_mul_f32_e32 v213, v93, v63
	v_fma_f32 v212, v89, v60, -v73
	v_mul_f32_e32 v73, v92, v57
	s_wait_loadcnt_dscnt 0x507
	v_dual_mul_f32 v215, v95, v59 :: v_dual_mul_f32 v216, v101, v53
	v_fmac_f32_e32 v213, v94, v62
	v_mul_f32_e32 v131, v75, v65
	v_fma_f32 v94, v91, v56, -v73
	v_mul_f32_e32 v73, v102, v53
	v_fmac_f32_e32 v216, v102, v52
	s_wait_dscnt 0x6
	v_mul_f32_e32 v218, v105, v55
	s_wait_loadcnt 0x4
	v_dual_mul_f32 v220, v107, v51 :: v_dual_sub_f32 v91, v208, v210
	v_fma_f32 v217, v101, v52, -v73
	v_mul_f32_e32 v73, v104, v49
	s_wait_loadcnt_dscnt 0x304
	v_mul_f32_e32 v221, v113, v45
	v_dual_fmac_f32 v131, v76, v64 :: v_dual_fmac_f32 v218, v106, v54
	s_wait_loadcnt_dscnt 0x203
	v_dual_mul_f32 v223, v117, v47 :: v_dual_mul_f32 v224, v115, v41
	s_delay_alu instid0(VALU_DEP_3) | instskip(NEXT) | instid1(VALU_DEP_3)
	v_fmac_f32_e32 v221, v114, v44
	v_add_f32_e32 v89, v84, v131
	v_mul_f32_e32 v225, v119, v43
	s_delay_alu instid0(VALU_DEP_4) | instskip(SKIP_4) | instid1(VALU_DEP_3)
	v_dual_sub_f32 v93, v211, v213 :: v_dual_fmac_f32 v224, v116, v40
	s_wait_loadcnt_dscnt 0x100
	v_dual_mul_f32 v226, v125, v37 :: v_dual_fmac_f32 v223, v118, v46
	v_fmac_f32_e32 v207, v78, v70
	v_fmac_f32_e32 v215, v96, v58
	v_dual_add_f32 v101, v87, v94 :: v_dual_fmac_f32 v226, v126, v36
	s_wait_loadcnt 0x0
	v_mul_f32_e32 v229, v205, v35
	v_mul_f32_e32 v74, v96, v59
	v_fmac_f32_e32 v209, v80, v66
	v_mul_f32_e32 v219, v103, v49
	v_fmac_f32_e32 v225, v120, v42
	v_fmac_f32_e32 v229, v206, v34
	v_fma_f32 v95, v95, v58, -v74
	v_mul_f32_e32 v74, v106, v55
	v_fma_f32 v106, v103, v48, -v73
	v_mul_f32_e32 v73, v114, v45
	v_fmac_f32_e32 v219, v104, v48
	s_delay_alu instid0(VALU_DEP_4) | instskip(SKIP_1) | instid1(VALU_DEP_4)
	v_fma_f32 v102, v105, v54, -v74
	v_mul_f32_e32 v74, v108, v51
	v_fma_f32 v222, v113, v44, -v73
	v_mul_f32_e32 v73, v116, v41
	s_delay_alu instid0(VALU_DEP_4) | instskip(NEXT) | instid1(VALU_DEP_4)
	v_sub_f32_e32 v113, v217, v102
	v_fma_f32 v107, v107, v50, -v74
	v_mul_f32_e32 v74, v118, v47
	s_delay_alu instid0(VALU_DEP_4) | instskip(SKIP_1) | instid1(VALU_DEP_3)
	v_fma_f32 v118, v115, v40, -v73
	v_mul_f32_e32 v73, v126, v37
	v_fma_f32 v114, v117, v46, -v74
	v_mul_f32_e32 v74, v120, v43
	s_delay_alu instid0(VALU_DEP_3)
	v_fma_f32 v227, v125, v36, -v73
	v_mul_f32_e32 v73, v128, v33
	v_add_f32_e32 v79, v82, v130
	v_add_f32_e32 v117, v221, v223
	v_fma_f32 v119, v119, v42, -v74
	v_dual_mul_f32 v74, v204, v39 :: v_dual_add_f32 v125, v111, v118
	s_delay_alu instid0(VALU_DEP_1) | instskip(SKIP_1) | instid1(VALU_DEP_1)
	v_fma_f32 v126, v203, v38, -v74
	v_mul_f32_e32 v74, v206, v35
	v_fma_f32 v205, v205, v34, -v74
	v_add_f32_e32 v74, v81, v129
	v_fmac_f32_e32 v214, v92, v56
	v_add_f32_e32 v92, v85, v212
	v_mul_f32_e32 v228, v203, v39
	v_mul_f32_e32 v203, v127, v33
	v_add_f32_e32 v75, v74, v77
	v_add_f32_e32 v76, v130, v207
	s_delay_alu instid0(VALU_DEP_4) | instskip(SKIP_2) | instid1(VALU_DEP_4)
	v_dual_sub_f32 v103, v214, v215 :: v_dual_fmac_f32 v228, v204, v38
	v_fma_f32 v204, v127, v32, -v73
	v_dual_add_f32 v73, v129, v77 :: v_dual_sub_f32 v78, v130, v207
	v_fma_f32 v74, -0.5, v76, v82
	v_sub_f32_e32 v80, v129, v77
	v_add_f32_e32 v76, v79, v207
	s_delay_alu instid0(VALU_DEP_4) | instskip(SKIP_3) | instid1(VALU_DEP_4)
	v_fma_f32 v73, -0.5, v73, v81
	v_add_f32_e32 v79, v208, v210
	v_add_f32_e32 v81, v83, v208
	v_dual_sub_f32 v82, v131, v209 :: v_dual_sub_f32 v105, v216, v218
	v_fmamk_f32 v77, v78, 0x3f5db3d7, v73
	v_dual_fmac_f32 v73, 0xbf5db3d7, v78 :: v_dual_fmamk_f32 v78, v80, 0xbf5db3d7, v74
	v_fmac_f32_e32 v74, 0x3f5db3d7, v80
	v_add_f32_e32 v80, v131, v209
	v_fma_f32 v83, -0.5, v79, v83
	v_fmac_f32_e32 v220, v108, v50
	v_dual_add_f32 v79, v81, v210 :: v_dual_add_f32 v108, v98, v216
	s_delay_alu instid0(VALU_DEP_4) | instskip(SKIP_2) | instid1(VALU_DEP_3)
	v_dual_add_f32 v127, v224, v225 :: v_dual_fmac_f32 v84, -0.5, v80
	v_dual_add_f32 v80, v89, v209 :: v_dual_add_f32 v89, v212, v90
	v_fmamk_f32 v81, v82, 0x3f5db3d7, v83
	v_dual_fmac_f32 v83, 0xbf5db3d7, v82 :: v_dual_fmamk_f32 v82, v91, 0xbf5db3d7, v84
	v_dual_fmac_f32 v84, 0x3f5db3d7, v91 :: v_dual_add_f32 v91, v211, v213
	s_delay_alu instid0(VALU_DEP_4) | instskip(SKIP_2) | instid1(VALU_DEP_4)
	v_fma_f32 v85, -0.5, v89, v85
	v_dual_add_f32 v89, v92, v90 :: v_dual_add_f32 v92, v86, v211
	v_dual_sub_f32 v96, v212, v90 :: v_dual_sub_f32 v115, v219, v220
	v_fma_f32 v86, -0.5, v91, v86
	s_delay_alu instid0(VALU_DEP_4) | instskip(SKIP_4) | instid1(VALU_DEP_3)
	v_fmamk_f32 v91, v93, 0x3f5db3d7, v85
	v_fmac_f32_e32 v85, 0xbf5db3d7, v93
	v_dual_add_f32 v93, v94, v95 :: v_dual_add_f32 v116, v109, v222
	v_dual_sub_f32 v129, v226, v228 :: v_dual_sub_f32 v120, v221, v223
	v_sub_f32_e32 v104, v94, v95
	v_fma_f32 v87, -0.5, v93, v87
	v_add_f32_e32 v93, v101, v95
	v_add_f32_e32 v101, v88, v214
	;; [unrolled: 1-line block ×3, first 2 shown]
	v_fmac_f32_e32 v203, v128, v32
	v_fmamk_f32 v95, v103, 0x3f5db3d7, v87
	v_fmac_f32_e32 v87, 0xbf5db3d7, v103
	v_add_f32_e32 v94, v101, v215
	v_add_f32_e32 v101, v217, v102
	;; [unrolled: 1-line block ×3, first 2 shown]
	v_dual_add_f32 v128, v121, v227 :: v_dual_add_f32 v131, v123, v204
	v_sub_f32_e32 v206, v203, v229
	s_delay_alu instid0(VALU_DEP_4) | instskip(NEXT) | instid1(VALU_DEP_4)
	v_fma_f32 v97, -0.5, v101, v97
	v_add_f32_e32 v101, v103, v102
	v_add_f32_e32 v102, v108, v218
	;; [unrolled: 1-line block ×3, first 2 shown]
	s_delay_alu instid0(VALU_DEP_4) | instskip(SKIP_4) | instid1(VALU_DEP_3)
	v_dual_sub_f32 v130, v227, v126 :: v_dual_fmamk_f32 v103, v105, 0x3f5db3d7, v97
	v_fmac_f32_e32 v97, 0xbf5db3d7, v105
	v_add_f32_e32 v105, v106, v107
	v_add_f32_e32 v207, v124, v203
	v_sub_f32_e32 v208, v204, v205
	v_fma_f32 v99, -0.5, v105, v99
	v_fmamk_f32 v92, v96, 0xbf5db3d7, v86
	v_fmac_f32_e32 v86, 0x3f5db3d7, v96
	v_add_f32_e32 v96, v214, v215
	v_add_f32_e32 v105, v108, v107
	;; [unrolled: 1-line block ×3, first 2 shown]
	s_delay_alu instid0(VALU_DEP_3) | instskip(NEXT) | instid1(VALU_DEP_1)
	v_fmac_f32_e32 v88, -0.5, v96
	v_fmamk_f32 v96, v104, 0xbf5db3d7, v88
	v_fmac_f32_e32 v88, 0x3f5db3d7, v104
	v_add_f32_e32 v104, v216, v218
	s_delay_alu instid0(VALU_DEP_1) | instskip(NEXT) | instid1(VALU_DEP_1)
	v_fma_f32 v98, -0.5, v104, v98
	v_fmamk_f32 v104, v113, 0xbf5db3d7, v98
	v_dual_fmac_f32 v98, 0x3f5db3d7, v113 :: v_dual_add_f32 v113, v219, v220
	s_delay_alu instid0(VALU_DEP_1) | instskip(SKIP_3) | instid1(VALU_DEP_4)
	v_dual_fmac_f32 v100, -0.5, v113 :: v_dual_sub_f32 v113, v106, v107
	v_fmamk_f32 v107, v115, 0x3f5db3d7, v99
	v_fmac_f32_e32 v99, 0xbf5db3d7, v115
	v_dual_add_f32 v115, v222, v114 :: v_dual_add_f32 v106, v108, v220
	v_fmamk_f32 v108, v113, 0xbf5db3d7, v100
	v_dual_fmac_f32 v100, 0x3f5db3d7, v113 :: v_dual_add_f32 v113, v116, v114
	s_delay_alu instid0(VALU_DEP_3) | instskip(SKIP_3) | instid1(VALU_DEP_4)
	v_fma_f32 v109, -0.5, v115, v109
	v_add_f32_e32 v116, v110, v221
	v_fma_f32 v110, -0.5, v117, v110
	v_sub_f32_e32 v117, v222, v114
	v_fmamk_f32 v115, v120, 0x3f5db3d7, v109
	v_dual_fmac_f32 v109, 0xbf5db3d7, v120 :: v_dual_add_f32 v120, v118, v119
	v_add_f32_e32 v114, v116, v223
	s_delay_alu instid0(VALU_DEP_4) | instskip(SKIP_1) | instid1(VALU_DEP_4)
	v_fmamk_f32 v116, v117, 0xbf5db3d7, v110
	v_dual_fmac_f32 v110, 0x3f5db3d7, v117 :: v_dual_add_f32 v117, v125, v119
	v_fma_f32 v111, -0.5, v120, v111
	v_sub_f32_e32 v120, v224, v225
	v_dual_add_f32 v125, v112, v224 :: v_dual_fmac_f32 v112, -0.5, v127
	v_sub_f32_e32 v127, v118, v119
	s_delay_alu instid0(VALU_DEP_3) | instskip(NEXT) | instid1(VALU_DEP_3)
	v_fmamk_f32 v119, v120, 0x3f5db3d7, v111
	v_dual_fmac_f32 v111, 0xbf5db3d7, v120 :: v_dual_add_f32 v118, v125, v225
	v_add_f32_e32 v125, v227, v126
	s_delay_alu instid0(VALU_DEP_4) | instskip(SKIP_1) | instid1(VALU_DEP_3)
	v_fmamk_f32 v120, v127, 0xbf5db3d7, v112
	v_dual_fmac_f32 v112, 0x3f5db3d7, v127 :: v_dual_add_f32 v127, v226, v228
	v_fma_f32 v121, -0.5, v125, v121
	v_add_f32_e32 v125, v128, v126
	v_add_f32_e32 v128, v122, v226
	s_delay_alu instid0(VALU_DEP_4) | instskip(NEXT) | instid1(VALU_DEP_4)
	v_fma_f32 v122, -0.5, v127, v122
	v_fmamk_f32 v127, v129, 0x3f5db3d7, v121
	s_delay_alu instid0(VALU_DEP_3) | instskip(NEXT) | instid1(VALU_DEP_3)
	v_dual_fmac_f32 v121, 0xbf5db3d7, v129 :: v_dual_add_f32 v126, v128, v228
	v_dual_add_f32 v129, v204, v205 :: v_dual_fmamk_f32 v128, v130, 0xbf5db3d7, v122
	v_fmac_f32_e32 v122, 0x3f5db3d7, v130
	v_add_f32_e32 v130, v203, v229
	s_delay_alu instid0(VALU_DEP_3) | instskip(NEXT) | instid1(VALU_DEP_2)
	v_fma_f32 v123, -0.5, v129, v123
	v_dual_add_f32 v129, v131, v205 :: v_dual_fmac_f32 v124, -0.5, v130
	s_delay_alu instid0(VALU_DEP_2) | instskip(NEXT) | instid1(VALU_DEP_2)
	v_dual_add_f32 v130, v207, v229 :: v_dual_fmamk_f32 v203, v206, 0x3f5db3d7, v123
	v_dual_fmac_f32 v123, 0xbf5db3d7, v206 :: v_dual_fmamk_f32 v204, v208, 0xbf5db3d7, v124
	v_fmac_f32_e32 v124, 0x3f5db3d7, v208
	ds_store_b64 v197, v[77:78] offset:400
	ds_store_b64 v197, v[73:74] offset:800
	ds_store_2addr_b64 v197, v[75:76], v[79:80] offset1:5
	ds_store_2addr_b64 v197, v[81:82], v[91:92] offset0:55 offset1:60
	ds_store_2addr_b64 v197, v[83:84], v[85:86] offset0:105 offset1:110
	;; [unrolled: 1-line block ×12, first 2 shown]
	ds_store_b64 v197, v[203:204] offset:760
	ds_store_b64 v197, v[123:124] offset:1160
	global_wb scope:SCOPE_SE
	s_wait_dscnt 0x0
	s_barrier_signal -1
	s_barrier_wait -1
	global_inv scope:SCOPE_SE
	s_clause 0x1d
	global_load_b64 v[96:97], v72, s[8:9] offset:1200
	global_load_b64 v[104:105], v72, s[2:3] offset:120
	;; [unrolled: 1-line block ×30, first 2 shown]
	ds_load_2addr_b64 v[72:75], v197 offset1:5
	ds_load_2addr_b64 v[76:79], v197 offset0:10 offset1:15
	ds_load_2addr_b64 v[80:83], v197 offset0:30 offset1:35
	;; [unrolled: 1-line block ×5, first 2 shown]
	s_mul_i32 s8, s5, 0xfffffbf0
	s_load_b64 s[2:3], s[0:1], 0x38
	s_sub_co_i32 s8, s8, s4
	s_mov_b32 s0, 0xb4e81b4f
	s_mov_b32 s1, 0x3f7b4e81
	s_wait_loadcnt_dscnt 0x1901
	v_mul_f32_e32 v242, v88, v111
	s_wait_loadcnt_dscnt 0x1800
	v_mul_f32_e32 v244, v94, v113
	s_delay_alu instid0(VALU_DEP_2) | instskip(NEXT) | instid1(VALU_DEP_2)
	v_fmac_f32_e32 v242, v89, v110
	v_fmac_f32_e32 v244, v95, v112
	v_mul_f32_e32 v98, v73, v97
	v_mul_f32_e32 v234, v72, v97
	s_delay_alu instid0(VALU_DEP_2) | instskip(NEXT) | instid1(VALU_DEP_2)
	v_fma_f32 v233, v72, v96, -v98
	v_fmac_f32_e32 v234, v73, v96
	ds_load_2addr_b64 v[96:99], v197 offset0:90 offset1:95
	v_mul_f32_e32 v100, v79, v105
	v_dual_mul_f32 v72, v81, v107 :: v_dual_mul_f32 v73, v87, v109
	v_mul_f32_e32 v236, v78, v105
	s_delay_alu instid0(VALU_DEP_3)
	v_fma_f32 v235, v78, v104, -v100
	ds_load_2addr_b64 v[100:103], v197 offset0:100 offset1:105
	v_fma_f32 v237, v80, v106, -v72
	v_fma_f32 v239, v86, v108, -v73
	v_dual_mul_f32 v72, v89, v111 :: v_dual_mul_f32 v73, v95, v113
	v_fmac_f32_e32 v236, v79, v104
	s_delay_alu instid0(VALU_DEP_2) | instskip(NEXT) | instid1(VALU_DEP_3)
	v_fma_f32 v241, v88, v110, -v72
	v_fma_f32 v243, v94, v112, -v73
	ds_load_2addr_b64 v[110:113], v197 offset0:140 offset1:145
	s_wait_loadcnt_dscnt 0x1702
	v_mul_f32_e32 v72, v97, v115
	v_mul_f32_e32 v246, v96, v115
	s_delay_alu instid0(VALU_DEP_2) | instskip(SKIP_1) | instid1(VALU_DEP_2)
	v_fma_f32 v245, v96, v114, -v72
	s_wait_loadcnt_dscnt 0x1601
	v_dual_fmac_f32 v246, v97, v114 :: v_dual_mul_f32 v73, v103, v117
	v_mul_f32_e32 v115, v102, v117
	ds_load_2addr_b64 v[94:97], v197 offset0:20 offset1:25
	s_wait_loadcnt 0x15
	v_mul_f32_e32 v72, v75, v119
	v_fma_f32 v114, v102, v116, -v73
	v_fmac_f32_e32 v115, v103, v116
	ds_load_2addr_b64 v[102:105], v197 offset0:80 offset1:85
	v_mul_f32_e32 v238, v80, v107
	s_delay_alu instid0(VALU_DEP_1) | instskip(SKIP_4) | instid1(VALU_DEP_3)
	v_dual_mul_f32 v107, v74, v119 :: v_dual_fmac_f32 v238, v81, v106
	ds_load_2addr_b64 v[78:81], v197 offset0:120 offset1:125
	v_mul_f32_e32 v240, v86, v109
	v_fma_f32 v106, v74, v118, -v72
	v_fmac_f32_e32 v107, v75, v118
	v_fmac_f32_e32 v240, v87, v108
	ds_load_2addr_b64 v[86:89], v197 offset0:130 offset1:135
	s_wait_loadcnt_dscnt 0x1103
	v_mul_f32_e32 v108, v95, v127
	s_wait_dscnt 0x1
	v_mul_f32_e32 v73, v79, v121
	v_mul_f32_e32 v117, v78, v121
	s_delay_alu instid0(VALU_DEP_2)
	v_fma_f32 v116, v78, v120, -v73
	ds_load_2addr_b64 v[72:75], v197 offset0:50 offset1:55
	v_fmac_f32_e32 v117, v79, v120
	s_wait_dscnt 0x1
	v_mul_f32_e32 v79, v88, v123
	v_mul_f32_e32 v78, v89, v123
	s_delay_alu instid0(VALU_DEP_2) | instskip(SKIP_1) | instid1(VALU_DEP_3)
	v_fmac_f32_e32 v79, v89, v122
	v_mul_f32_e32 v89, v82, v125
	v_fma_f32 v78, v88, v122, -v78
	v_mul_f32_e32 v88, v83, v125
	s_delay_alu instid0(VALU_DEP_3) | instskip(SKIP_1) | instid1(VALU_DEP_3)
	v_fmac_f32_e32 v89, v83, v124
	v_mul_f32_e32 v83, v94, v127
	v_fma_f32 v88, v82, v124, -v88
	v_fma_f32 v82, v94, v126, -v108
	s_delay_alu instid0(VALU_DEP_3)
	v_fmac_f32_e32 v83, v95, v126
	s_wait_loadcnt 0xf
	v_mul_f32_e32 v95, v90, v131
	ds_store_2addr_b64 v197, v[237:238], v[88:89] offset0:30 offset1:35
	s_wait_dscnt 0x1
	v_mul_f32_e32 v89, v72, v129
	v_fmac_f32_e32 v95, v91, v130
	ds_store_2addr_b64 v197, v[233:234], v[106:107] offset1:5
	v_mul_f32_e32 v106, v73, v129
	v_fmac_f32_e32 v89, v73, v128
	s_wait_loadcnt 0xe
	v_mul_f32_e32 v73, v98, v204
	s_delay_alu instid0(VALU_DEP_3)
	v_fma_f32 v88, v72, v128, -v106
	v_mul_f32_e32 v72, v91, v131
	ds_load_2addr_b64 v[106:109], v197 offset0:110 offset1:115
	s_wait_loadcnt 0xd
	v_mul_f32_e32 v91, v102, v206
	v_fmac_f32_e32 v73, v99, v203
	v_fma_f32 v94, v90, v130, -v72
	v_mul_f32_e32 v90, v103, v206
	s_wait_loadcnt 0x7
	v_dual_mul_f32 v72, v99, v204 :: v_dual_mul_f32 v99, v96, v218
	v_fmac_f32_e32 v91, v103, v205
	ds_store_2addr_b64 v197, v[241:242], v[94:95] offset0:60 offset1:65
	v_mul_f32_e32 v94, v81, v208
	v_mul_f32_e32 v95, v80, v208
	v_fma_f32 v90, v102, v205, -v90
	v_mul_f32_e32 v102, v85, v216
	v_fma_f32 v72, v98, v203, -v72
	v_fma_f32 v94, v80, v207, -v94
	v_fmac_f32_e32 v95, v81, v207
	v_mul_f32_e32 v98, v97, v218
	v_fmac_f32_e32 v99, v97, v217
	s_wait_loadcnt 0x6
	v_mul_f32_e32 v97, v74, v220
	s_wait_loadcnt 0x5
	v_mul_f32_e32 v103, v92, v222
	ds_store_2addr_b64 v197, v[116:117], v[94:95] offset0:120 offset1:125
	v_mul_f32_e32 v95, v76, v214
	v_mul_f32_e32 v94, v77, v214
	v_fma_f32 v98, v96, v217, -v98
	v_fmac_f32_e32 v97, v75, v219
	v_fmac_f32_e32 v103, v93, v221
	;; [unrolled: 1-line block ×3, first 2 shown]
	v_mul_f32_e32 v77, v84, v216
	ds_store_2addr_b64 v197, v[245:246], v[72:73] offset0:90 offset1:95
	s_wait_dscnt 0x3
	v_mul_f32_e32 v73, v106, v210
	v_dual_mul_f32 v72, v107, v210 :: v_dual_mul_f32 v81, v110, v212
	v_fmac_f32_e32 v77, v85, v215
	s_wait_loadcnt 0x1
	v_mul_f32_e32 v85, v86, v230
	v_fmac_f32_e32 v73, v107, v209
	v_fmac_f32_e32 v81, v111, v211
	s_delay_alu instid0(VALU_DEP_3)
	v_fmac_f32_e32 v85, v87, v229
	v_fma_f32 v94, v76, v213, -v94
	v_fma_f32 v76, v84, v215, -v102
	v_mul_f32_e32 v84, v75, v220
	v_mul_f32_e32 v102, v93, v222
	;; [unrolled: 1-line block ×3, first 2 shown]
	s_delay_alu instid0(VALU_DEP_3) | instskip(NEXT) | instid1(VALU_DEP_3)
	v_fma_f32 v96, v74, v219, -v84
	v_fma_f32 v102, v92, v221, -v102
	v_mul_f32_e32 v74, v105, v226
	ds_store_2addr_b64 v197, v[94:95], v[235:236] offset0:10 offset1:15
	ds_store_2addr_b64 v197, v[82:83], v[98:99] offset0:20 offset1:25
	;; [unrolled: 1-line block ×5, first 2 shown]
	v_mul_f32_e32 v76, v101, v224
	v_mul_f32_e32 v77, v100, v224
	;; [unrolled: 1-line block ×3, first 2 shown]
	v_dual_mul_f32 v83, v108, v228 :: v_dual_mul_f32 v84, v87, v230
	s_wait_loadcnt 0x0
	v_mul_f32_e32 v89, v113, v232
	v_mul_f32_e32 v80, v111, v212
	;; [unrolled: 1-line block ×3, first 2 shown]
	v_fma_f32 v74, v104, v225, -v74
	v_fmac_f32_e32 v75, v105, v225
	v_fma_f32 v76, v100, v223, -v76
	v_fmac_f32_e32 v77, v101, v223
	v_fma_f32 v72, v106, v209, -v72
	v_fma_f32 v82, v108, v227, -v82
	v_fmac_f32_e32 v83, v109, v227
	v_fma_f32 v84, v86, v229, -v84
	v_fma_f32 v80, v110, v211, -v80
	;; [unrolled: 1-line block ×3, first 2 shown]
	v_fmac_f32_e32 v88, v113, v231
	ds_store_2addr_b64 v197, v[90:91], v[74:75] offset0:80 offset1:85
	ds_store_2addr_b64 v197, v[76:77], v[114:115] offset0:100 offset1:105
	;; [unrolled: 1-line block ×5, first 2 shown]
	global_wb scope:SCOPE_SE
	s_wait_dscnt 0x0
	s_wait_kmcnt 0x0
	s_barrier_signal -1
	s_barrier_wait -1
	global_inv scope:SCOPE_SE
	ds_load_2addr_b64 v[112:115], v197 offset1:5
	ds_load_2addr_b64 v[203:206], v197 offset0:30 offset1:35
	ds_load_2addr_b64 v[207:210], v197 offset0:60 offset1:65
	;; [unrolled: 1-line block ×10, first 2 shown]
	s_wait_dscnt 0x8
	v_sub_f32_e32 v120, v203, v207
	s_wait_dscnt 0x6
	v_dual_add_f32 v81, v207, v211 :: v_dual_sub_f32 v116, v204, v216
	v_dual_add_f32 v118, v203, v215 :: v_dual_sub_f32 v119, v208, v212
	v_sub_f32_e32 v121, v215, v211
	s_delay_alu instid0(VALU_DEP_3) | instskip(SKIP_3) | instid1(VALU_DEP_3)
	v_fma_f32 v123, -0.5, v81, v112
	s_wait_dscnt 0x1
	v_sub_f32_e32 v130, v106, v110
	v_fma_f32 v125, -0.5, v118, v112
	v_fmamk_f32 v124, v116, 0xbf737871, v123
	v_fmac_f32_e32 v123, 0x3f737871, v116
	s_delay_alu instid0(VALU_DEP_3) | instskip(SKIP_1) | instid1(VALU_DEP_4)
	v_fmamk_f32 v126, v119, 0x3f737871, v125
	v_fmac_f32_e32 v125, 0xbf737871, v119
	v_fmac_f32_e32 v124, 0xbf167918, v119
	s_delay_alu instid0(VALU_DEP_4)
	v_fmac_f32_e32 v123, 0x3f167918, v119
	v_add_f32_e32 v80, v112, v203
	v_dual_sub_f32 v119, v203, v215 :: v_dual_add_f32 v112, v120, v121
	v_add_f32_e32 v120, v208, v212
	v_dual_fmac_f32 v125, 0x3f167918, v116 :: v_dual_sub_f32 v118, v211, v215
	v_add_f32_e32 v121, v204, v216
	s_delay_alu instid0(VALU_DEP_4) | instskip(NEXT) | instid1(VALU_DEP_4)
	v_dual_fmac_f32 v123, 0x3e9e377a, v112 :: v_dual_add_f32 v88, v80, v207
	v_fma_f32 v131, -0.5, v120, v113
	v_fmac_f32_e32 v126, 0xbf167918, v116
	v_sub_f32_e32 v116, v207, v211
	v_fma_f32 v129, -0.5, v121, v113
	v_add_f32_e32 v117, v88, v211
	v_fmamk_f32 v127, v119, 0x3f737871, v131
	v_dual_fmac_f32 v131, 0xbf737871, v119 :: v_dual_sub_f32 v120, v216, v212
	ds_load_2addr_b64 v[92:95], v197 offset0:50 offset1:55
	ds_load_2addr_b64 v[84:87], v197 offset0:80 offset1:85
	;; [unrolled: 1-line block ×3, first 2 shown]
	v_add_f32_e32 v122, v117, v215
	v_sub_f32_e32 v117, v207, v203
	v_fmac_f32_e32 v127, 0x3f167918, v116
	v_fmac_f32_e32 v131, 0xbf167918, v116
	;; [unrolled: 1-line block ×3, first 2 shown]
	v_fmamk_f32 v207, v116, 0xbf737871, v129
	v_add_f32_e32 v117, v117, v118
	v_dual_add_f32 v118, v113, v204 :: v_dual_add_f32 v113, v102, v106
	ds_load_2addr_b64 v[88:91], v197 offset0:140 offset1:145
	v_fmac_f32_e32 v207, 0x3f167918, v119
	v_fmac_f32_e32 v126, 0x3e9e377a, v117
	v_add_f32_e32 v112, v118, v208
	v_sub_f32_e32 v118, v204, v208
	v_fma_f32 v113, -0.5, v113, v74
	v_fmac_f32_e32 v125, 0x3e9e377a, v117
	v_sub_f32_e32 v117, v208, v204
	v_add_f32_e32 v112, v112, v212
	v_add_f32_e32 v118, v118, v120
	v_sub_f32_e32 v120, v103, v107
	global_wb scope:SCOPE_SE
	s_wait_dscnt 0x0
	s_barrier_signal -1
	s_barrier_wait -1
	v_fmac_f32_e32 v127, 0x3e9e377a, v118
	v_dual_fmac_f32 v131, 0x3e9e377a, v118 :: v_dual_sub_f32 v118, v212, v216
	global_inv scope:SCOPE_SE
	v_add_f32_e32 v117, v117, v118
	s_delay_alu instid0(VALU_DEP_1) | instskip(SKIP_1) | instid1(VALU_DEP_1)
	v_dual_add_f32 v118, v98, v110 :: v_dual_fmac_f32 v207, 0x3e9e377a, v117
	v_dual_fmac_f32 v129, 0x3f737871, v116 :: v_dual_sub_f32 v116, v99, v111
	v_fmac_f32_e32 v129, 0xbf167918, v119
	s_delay_alu instid0(VALU_DEP_2) | instskip(NEXT) | instid1(VALU_DEP_2)
	v_fmamk_f32 v119, v116, 0xbf737871, v113
	v_fmac_f32_e32 v129, 0x3e9e377a, v117
	v_sub_f32_e32 v117, v110, v106
	v_dual_add_f32 v203, v112, v216 :: v_dual_add_f32 v112, v74, v98
	v_fma_f32 v74, -0.5, v118, v74
	s_delay_alu instid0(VALU_DEP_1) | instskip(SKIP_1) | instid1(VALU_DEP_2)
	v_fmamk_f32 v121, v120, 0x3f737871, v74
	v_fmac_f32_e32 v113, 0x3f737871, v116
	v_fmac_f32_e32 v121, 0xbf167918, v116
	v_dual_fmac_f32 v119, 0xbf167918, v120 :: v_dual_add_f32 v112, v112, v102
	s_delay_alu instid0(VALU_DEP_3) | instskip(SKIP_1) | instid1(VALU_DEP_3)
	v_fmac_f32_e32 v113, 0x3f167918, v120
	v_fmac_f32_e32 v74, 0xbf737871, v120
	v_add_f32_e32 v112, v112, v106
	s_delay_alu instid0(VALU_DEP_1) | instskip(SKIP_1) | instid1(VALU_DEP_1)
	v_add_f32_e32 v128, v112, v110
	v_sub_f32_e32 v112, v98, v102
	v_add_f32_e32 v112, v112, v117
	v_sub_f32_e32 v118, v102, v98
	v_sub_f32_e32 v98, v98, v110
	;; [unrolled: 1-line block ×3, first 2 shown]
	s_delay_alu instid0(VALU_DEP_4) | instskip(NEXT) | instid1(VALU_DEP_4)
	v_dual_sub_f32 v110, v99, v103 :: v_dual_fmac_f32 v113, 0x3e9e377a, v112
	v_add_f32_e32 v117, v118, v130
	v_dual_fmac_f32 v119, 0x3e9e377a, v112 :: v_dual_add_f32 v118, v103, v107
	s_delay_alu instid0(VALU_DEP_2) | instskip(NEXT) | instid1(VALU_DEP_2)
	v_dual_add_f32 v112, v99, v111 :: v_dual_fmac_f32 v121, 0x3e9e377a, v117
	v_fma_f32 v120, -0.5, v118, v75
	s_delay_alu instid0(VALU_DEP_2) | instskip(SKIP_2) | instid1(VALU_DEP_2)
	v_fma_f32 v106, -0.5, v112, v75
	v_add_f32_e32 v75, v75, v99
	v_sub_f32_e32 v99, v103, v99
	v_dual_add_f32 v75, v75, v103 :: v_dual_fmac_f32 v74, 0x3f167918, v116
	v_sub_f32_e32 v116, v107, v111
	s_delay_alu instid0(VALU_DEP_2) | instskip(NEXT) | instid1(VALU_DEP_2)
	v_dual_add_f32 v75, v75, v107 :: v_dual_fmac_f32 v74, 0x3e9e377a, v117
	v_add_f32_e32 v99, v99, v116
	v_fmamk_f32 v117, v98, 0x3f737871, v120
	s_delay_alu instid0(VALU_DEP_3) | instskip(SKIP_2) | instid1(VALU_DEP_4)
	v_dual_fmac_f32 v120, 0xbf737871, v98 :: v_dual_add_f32 v75, v75, v111
	v_fmamk_f32 v130, v102, 0xbf737871, v106
	v_fmac_f32_e32 v106, 0x3f737871, v102
	v_fmac_f32_e32 v117, 0x3f167918, v102
	s_delay_alu instid0(VALU_DEP_4) | instskip(NEXT) | instid1(VALU_DEP_4)
	v_fmac_f32_e32 v120, 0xbf167918, v102
	v_fmac_f32_e32 v130, 0x3f167918, v98
	s_delay_alu instid0(VALU_DEP_1) | instskip(NEXT) | instid1(VALU_DEP_1)
	v_fmac_f32_e32 v130, 0x3e9e377a, v99
	v_mul_f32_e32 v204, 0x3e9e377a, v130
	s_delay_alu instid0(VALU_DEP_1) | instskip(SKIP_1) | instid1(VALU_DEP_1)
	v_fmac_f32_e32 v204, 0x3f737871, v121
	v_fmac_f32_e32 v106, 0xbf167918, v98
	;; [unrolled: 1-line block ×3, first 2 shown]
	v_dual_mul_f32 v99, 0xbf737871, v130 :: v_dual_sub_f32 v112, v111, v107
	v_mul_f32_e32 v107, 0x3f167918, v119
	s_delay_alu instid0(VALU_DEP_2) | instskip(NEXT) | instid1(VALU_DEP_1)
	v_dual_fmac_f32 v99, 0x3e9e377a, v121 :: v_dual_add_f32 v110, v110, v112
	v_fmac_f32_e32 v120, 0x3e9e377a, v110
	s_delay_alu instid0(VALU_DEP_1) | instskip(NEXT) | instid1(VALU_DEP_1)
	v_mul_f32_e32 v103, 0xbf167918, v120
	v_dual_mul_f32 v208, 0xbf4f1bbd, v120 :: v_dual_fmac_f32 v103, 0xbf4f1bbd, v113
	v_dual_fmac_f32 v117, 0x3e9e377a, v110 :: v_dual_add_f32 v116, v122, v128
	v_sub_f32_e32 v122, v122, v128
	v_add_f32_e32 v110, v126, v99
	s_delay_alu instid0(VALU_DEP_3)
	v_dual_add_f32 v120, v123, v103 :: v_dual_fmac_f32 v107, 0x3f4f1bbd, v117
	v_dual_mul_f32 v98, 0xbf167918, v117 :: v_dual_add_f32 v117, v203, v75
	v_sub_f32_e32 v130, v123, v103
	v_sub_f32_e32 v123, v203, v75
	v_sub_f32_e32 v75, v206, v218
	v_mul_f32_e32 v102, 0xbf737871, v106
	v_dual_sub_f32 v103, v210, v214 :: v_dual_fmac_f32 v208, 0x3f167918, v113
	v_dual_sub_f32 v203, v213, v217 :: v_dual_mul_f32 v106, 0xbe9e377a, v106
	s_delay_alu instid0(VALU_DEP_3) | instskip(NEXT) | instid1(VALU_DEP_3)
	v_fmac_f32_e32 v102, 0xbe9e377a, v74
	v_dual_sub_f32 v126, v126, v99 :: v_dual_add_f32 v121, v131, v208
	s_delay_alu instid0(VALU_DEP_3) | instskip(NEXT) | instid1(VALU_DEP_3)
	v_dual_sub_f32 v131, v131, v208 :: v_dual_fmac_f32 v106, 0x3f737871, v74
	v_add_f32_e32 v112, v125, v102
	v_add_f32_e32 v74, v114, v205
	v_dual_sub_f32 v128, v125, v102 :: v_dual_sub_f32 v125, v127, v107
	s_delay_alu instid0(VALU_DEP_4) | instskip(NEXT) | instid1(VALU_DEP_3)
	v_dual_fmac_f32 v98, 0x3f4f1bbd, v119 :: v_dual_add_f32 v113, v129, v106
	v_dual_sub_f32 v129, v129, v106 :: v_dual_add_f32 v74, v74, v209
	s_delay_alu instid0(VALU_DEP_2) | instskip(SKIP_2) | instid1(VALU_DEP_4)
	v_dual_add_f32 v119, v127, v107 :: v_dual_add_f32 v118, v124, v98
	v_sub_f32_e32 v124, v124, v98
	v_add_f32_e32 v98, v209, v213
	v_add_f32_e32 v74, v74, v213
	;; [unrolled: 1-line block ×3, first 2 shown]
	v_sub_f32_e32 v106, v205, v209
	v_sub_f32_e32 v107, v217, v213
	v_fma_f32 v98, -0.5, v98, v114
	s_delay_alu instid0(VALU_DEP_4) | instskip(SKIP_1) | instid1(VALU_DEP_3)
	v_fma_f32 v102, -0.5, v102, v114
	v_add_f32_e32 v114, v74, v217
	v_dual_add_f32 v74, v106, v107 :: v_dual_fmamk_f32 v99, v75, 0xbf737871, v98
	v_dual_fmac_f32 v98, 0x3f737871, v75 :: v_dual_sub_f32 v107, v209, v205
	s_delay_alu instid0(VALU_DEP_4) | instskip(SKIP_1) | instid1(VALU_DEP_4)
	v_fmamk_f32 v106, v103, 0x3f737871, v102
	v_fmac_f32_e32 v102, 0xbf737871, v103
	v_fmac_f32_e32 v99, 0xbf167918, v103
	s_delay_alu instid0(VALU_DEP_4)
	v_fmac_f32_e32 v98, 0x3f167918, v103
	v_add_f32_e32 v107, v107, v203
	v_add_f32_e32 v103, v115, v206
	;; [unrolled: 1-line block ×3, first 2 shown]
	v_sub_f32_e32 v127, v207, v204
	v_dual_sub_f32 v203, v205, v217 :: v_dual_add_f32 v204, v210, v214
	v_dual_add_f32 v207, v206, v218 :: v_dual_fmac_f32 v102, 0x3f167918, v75
	v_sub_f32_e32 v205, v218, v214
	s_delay_alu instid0(VALU_DEP_3) | instskip(NEXT) | instid1(VALU_DEP_3)
	v_fma_f32 v219, -0.5, v204, v115
	v_fmac_f32_e32 v115, -0.5, v207
	v_dual_sub_f32 v207, v85, v81 :: v_dual_fmac_f32 v106, 0xbf167918, v75
	v_dual_sub_f32 v75, v209, v213 :: v_dual_sub_f32 v204, v206, v210
	v_fmac_f32_e32 v102, 0x3e9e377a, v107
	s_delay_alu instid0(VALU_DEP_2) | instskip(NEXT) | instid1(VALU_DEP_3)
	v_fmamk_f32 v216, v75, 0xbf737871, v115
	v_dual_add_f32 v204, v204, v205 :: v_dual_sub_f32 v205, v210, v206
	v_dual_sub_f32 v206, v214, v218 :: v_dual_fmac_f32 v115, 0x3f737871, v75
	s_delay_alu instid0(VALU_DEP_1) | instskip(SKIP_1) | instid1(VALU_DEP_3)
	v_dual_fmac_f32 v216, 0x3f167918, v203 :: v_dual_add_f32 v205, v205, v206
	v_fmac_f32_e32 v99, 0x3e9e377a, v74
	v_fmac_f32_e32 v115, 0xbf167918, v203
	;; [unrolled: 1-line block ×3, first 2 shown]
	v_add_f32_e32 v74, v103, v210
	v_fmamk_f32 v103, v203, 0x3f737871, v219
	v_fmac_f32_e32 v219, 0xbf737871, v203
	v_dual_add_f32 v203, v92, v88 :: v_dual_fmac_f32 v216, 0x3e9e377a, v205
	v_fmac_f32_e32 v115, 0x3e9e377a, v205
	s_delay_alu instid0(VALU_DEP_4) | instskip(NEXT) | instid1(VALU_DEP_4)
	v_fmac_f32_e32 v103, 0x3f167918, v75
	v_fmac_f32_e32 v219, 0xbf167918, v75
	s_delay_alu instid0(VALU_DEP_4) | instskip(SKIP_1) | instid1(VALU_DEP_4)
	v_fma_f32 v208, -0.5, v203, v76
	v_dual_sub_f32 v203, v84, v92 :: v_dual_fmac_f32 v106, 0x3e9e377a, v107
	v_fmac_f32_e32 v103, 0x3e9e377a, v204
	s_delay_alu instid0(VALU_DEP_4) | instskip(SKIP_2) | instid1(VALU_DEP_2)
	v_fmac_f32_e32 v219, 0x3e9e377a, v204
	v_add_f32_e32 v204, v84, v80
	v_dual_sub_f32 v205, v80, v88 :: v_dual_fmamk_f32 v210, v207, 0x3f737871, v208
	v_fma_f32 v75, -0.5, v204, v76
	v_sub_f32_e32 v204, v93, v89
	s_delay_alu instid0(VALU_DEP_1) | instskip(SKIP_1) | instid1(VALU_DEP_2)
	v_fmamk_f32 v206, v204, 0xbf737871, v75
	v_dual_fmac_f32 v75, 0x3f737871, v204 :: v_dual_add_f32 v74, v74, v214
	v_fmac_f32_e32 v206, 0xbf167918, v207
	s_delay_alu instid0(VALU_DEP_2) | instskip(NEXT) | instid1(VALU_DEP_3)
	v_fmac_f32_e32 v75, 0x3f167918, v207
	v_dual_add_f32 v107, v74, v218 :: v_dual_add_f32 v74, v76, v92
	v_sub_f32_e32 v76, v88, v80
	v_fmac_f32_e32 v208, 0xbf737871, v207
	s_delay_alu instid0(VALU_DEP_3) | instskip(NEXT) | instid1(VALU_DEP_2)
	v_add_f32_e32 v74, v74, v84
	v_fmac_f32_e32 v208, 0x3f167918, v204
	s_delay_alu instid0(VALU_DEP_2) | instskip(NEXT) | instid1(VALU_DEP_1)
	v_add_f32_e32 v74, v74, v80
	v_add_f32_e32 v209, v74, v88
	v_sub_f32_e32 v74, v92, v84
	v_fmac_f32_e32 v210, 0xbf167918, v204
	v_sub_f32_e32 v88, v92, v88
	v_sub_f32_e32 v92, v89, v81
	s_delay_alu instid0(VALU_DEP_4) | instskip(SKIP_1) | instid1(VALU_DEP_2)
	v_add_f32_e32 v74, v74, v76
	v_add_f32_e32 v76, v203, v205
	v_dual_add_f32 v203, v85, v81 :: v_dual_fmac_f32 v206, 0x3e9e377a, v74
	v_dual_fmac_f32 v75, 0x3e9e377a, v74 :: v_dual_add_f32 v74, v93, v89
	s_delay_alu instid0(VALU_DEP_2) | instskip(NEXT) | instid1(VALU_DEP_4)
	v_fma_f32 v204, -0.5, v203, v77
	v_fmac_f32_e32 v210, 0x3e9e377a, v76
	v_fmac_f32_e32 v208, 0x3e9e377a, v76
	v_sub_f32_e32 v76, v84, v80
	v_fma_f32 v80, -0.5, v74, v77
	v_sub_f32_e32 v84, v93, v85
	v_sub_f32_e32 v203, v81, v89
	v_dual_add_f32 v74, v77, v93 :: v_dual_fmamk_f32 v77, v88, 0x3f737871, v204
	v_fmac_f32_e32 v204, 0xbf737871, v88
	s_delay_alu instid0(VALU_DEP_4) | instskip(NEXT) | instid1(VALU_DEP_3)
	v_add_f32_e32 v84, v84, v92
	v_dual_fmamk_f32 v207, v76, 0xbf737871, v80 :: v_dual_add_f32 v74, v74, v85
	s_delay_alu instid0(VALU_DEP_4) | instskip(NEXT) | instid1(VALU_DEP_4)
	v_fmac_f32_e32 v77, 0x3f167918, v76
	v_dual_fmac_f32 v204, 0xbf167918, v76 :: v_dual_sub_f32 v93, v85, v93
	s_delay_alu instid0(VALU_DEP_2) | instskip(NEXT) | instid1(VALU_DEP_2)
	v_dual_add_f32 v74, v74, v81 :: v_dual_fmac_f32 v77, 0x3e9e377a, v84
	v_fmac_f32_e32 v204, 0x3e9e377a, v84
	s_delay_alu instid0(VALU_DEP_3) | instskip(NEXT) | instid1(VALU_DEP_3)
	v_add_f32_e32 v92, v93, v203
	v_add_f32_e32 v84, v74, v89
	s_delay_alu instid0(VALU_DEP_4) | instskip(NEXT) | instid1(VALU_DEP_4)
	v_mul_f32_e32 v81, 0xbf167918, v77
	v_mul_f32_e32 v89, 0xbf167918, v204
	v_mul_f32_e32 v218, 0xbf4f1bbd, v204
	v_add_f32_e32 v74, v114, v209
	v_sub_f32_e32 v209, v114, v209
	s_delay_alu instid0(VALU_DEP_4) | instskip(NEXT) | instid1(VALU_DEP_4)
	v_fmac_f32_e32 v89, 0xbf4f1bbd, v75
	v_dual_fmac_f32 v218, 0x3f167918, v75 :: v_dual_add_f32 v75, v107, v84
	s_delay_alu instid0(VALU_DEP_2) | instskip(SKIP_1) | instid1(VALU_DEP_1)
	v_sub_f32_e32 v217, v98, v89
	v_fmac_f32_e32 v207, 0x3f167918, v88
	v_fmac_f32_e32 v207, 0x3e9e377a, v92
	s_delay_alu instid0(VALU_DEP_1) | instskip(SKIP_2) | instid1(VALU_DEP_3)
	v_mul_f32_e32 v85, 0xbf737871, v207
	v_mul_f32_e32 v93, 0x3e9e377a, v207
	v_dual_add_f32 v207, v98, v89 :: v_dual_add_f32 v98, v96, v108
	v_fmac_f32_e32 v85, 0x3e9e377a, v210
	s_delay_alu instid0(VALU_DEP_1) | instskip(SKIP_3) | instid1(VALU_DEP_2)
	v_add_f32_e32 v203, v106, v85
	v_sub_f32_e32 v213, v106, v85
	v_add_f32_e32 v85, v72, v96
	v_dual_fmac_f32 v93, 0x3f737871, v210 :: v_dual_sub_f32 v210, v107, v84
	v_add_f32_e32 v84, v85, v100
	v_dual_sub_f32 v85, v101, v105 :: v_dual_fmac_f32 v80, 0x3f737871, v76
	s_delay_alu instid0(VALU_DEP_3) | instskip(SKIP_2) | instid1(VALU_DEP_4)
	v_add_f32_e32 v204, v216, v93
	v_sub_f32_e32 v214, v216, v93
	v_sub_f32_e32 v93, v108, v104
	v_fmac_f32_e32 v80, 0xbf167918, v88
	s_delay_alu instid0(VALU_DEP_1) | instskip(SKIP_1) | instid1(VALU_DEP_2)
	v_fmac_f32_e32 v80, 0x3e9e377a, v92
	v_mul_f32_e32 v92, 0x3f167918, v206
	v_mul_f32_e32 v88, 0xbf737871, v80
	s_delay_alu instid0(VALU_DEP_2) | instskip(SKIP_1) | instid1(VALU_DEP_2)
	v_fmac_f32_e32 v92, 0x3f4f1bbd, v77
	v_mul_f32_e32 v80, 0xbe9e377a, v80
	v_add_f32_e32 v77, v103, v92
	v_dual_fmac_f32 v81, 0x3f4f1bbd, v206 :: v_dual_sub_f32 v212, v103, v92
	s_delay_alu instid0(VALU_DEP_1) | instskip(SKIP_3) | instid1(VALU_DEP_2)
	v_add_f32_e32 v76, v99, v81
	v_sub_f32_e32 v211, v99, v81
	v_add_f32_e32 v81, v100, v104
	v_add_f32_e32 v99, v73, v97
	v_fma_f32 v89, -0.5, v81, v72
	v_dual_sub_f32 v81, v97, v109 :: v_dual_fmac_f32 v88, 0xbe9e377a, v208
	v_fmac_f32_e32 v80, 0x3f737871, v208
	v_fma_f32 v72, -0.5, v98, v72
	v_sub_f32_e32 v98, v104, v108
	s_delay_alu instid0(VALU_DEP_4)
	v_dual_fmamk_f32 v92, v81, 0xbf737871, v89 :: v_dual_add_f32 v205, v102, v88
	v_sub_f32_e32 v215, v102, v88
	v_dual_sub_f32 v88, v96, v100 :: v_dual_fmac_f32 v89, 0x3f737871, v81
	v_add_f32_e32 v206, v115, v80
	v_sub_f32_e32 v216, v115, v80
	v_add_f32_e32 v80, v84, v104
	v_fmac_f32_e32 v92, 0xbf167918, v85
	v_add_f32_e32 v84, v88, v93
	v_fmac_f32_e32 v89, 0x3f167918, v85
	s_delay_alu instid0(VALU_DEP_4) | instskip(SKIP_1) | instid1(VALU_DEP_4)
	v_dual_fmamk_f32 v93, v85, 0x3f737871, v72 :: v_dual_add_f32 v88, v80, v108
	v_sub_f32_e32 v80, v100, v96
	v_fmac_f32_e32 v92, 0x3e9e377a, v84
	v_add_f32_e32 v102, v101, v105
	v_fmac_f32_e32 v72, 0xbf737871, v85
	v_add_f32_e32 v85, v99, v101
	v_dual_fmac_f32 v89, 0x3e9e377a, v84 :: v_dual_add_f32 v84, v97, v109
	v_dual_fmac_f32 v93, 0xbf167918, v81 :: v_dual_add_f32 v80, v80, v98
	v_fma_f32 v98, -0.5, v102, v73
	v_sub_f32_e32 v96, v96, v108
	v_fmac_f32_e32 v72, 0x3f167918, v81
	v_add_f32_e32 v81, v85, v105
	v_dual_sub_f32 v85, v100, v104 :: v_dual_sub_f32 v100, v97, v101
	v_dual_sub_f32 v102, v109, v105 :: v_dual_fmac_f32 v73, -0.5, v84
	v_fmac_f32_e32 v93, 0x3e9e377a, v80
	v_fmamk_f32 v99, v96, 0x3f737871, v98
	v_dual_fmac_f32 v72, 0x3e9e377a, v80 :: v_dual_add_f32 v103, v81, v109
	s_delay_alu instid0(VALU_DEP_4)
	v_add_f32_e32 v80, v100, v102
	v_fmamk_f32 v100, v85, 0xbf737871, v73
	v_sub_f32_e32 v81, v101, v97
	v_sub_f32_e32 v84, v105, v109
	v_fmac_f32_e32 v73, 0x3f737871, v85
	v_fmac_f32_e32 v99, 0x3f167918, v85
	v_sub_f32_e32 v105, v82, v90
	s_delay_alu instid0(VALU_DEP_4) | instskip(NEXT) | instid1(VALU_DEP_4)
	v_dual_add_f32 v208, v219, v218 :: v_dual_add_f32 v81, v81, v84
	v_fmac_f32_e32 v73, 0xbf167918, v96
	s_delay_alu instid0(VALU_DEP_4) | instskip(SKIP_1) | instid1(VALU_DEP_3)
	v_fmac_f32_e32 v99, 0x3e9e377a, v80
	v_dual_fmac_f32 v100, 0x3f167918, v96 :: v_dual_add_f32 v97, v78, v94
	v_dual_sub_f32 v104, v86, v94 :: v_dual_fmac_f32 v73, 0x3e9e377a, v81
	v_fmac_f32_e32 v98, 0xbf737871, v96
	s_delay_alu instid0(VALU_DEP_3) | instskip(SKIP_1) | instid1(VALU_DEP_3)
	v_fmac_f32_e32 v100, 0x3e9e377a, v81
	v_sub_f32_e32 v96, v95, v91
	v_dual_fmac_f32 v98, 0xbf167918, v85 :: v_dual_add_f32 v85, v86, v82
	s_delay_alu instid0(VALU_DEP_1) | instskip(SKIP_1) | instid1(VALU_DEP_3)
	v_fmac_f32_e32 v98, 0x3e9e377a, v80
	v_add_f32_e32 v84, v97, v86
	v_fma_f32 v85, -0.5, v85, v78
	s_delay_alu instid0(VALU_DEP_2) | instskip(NEXT) | instid1(VALU_DEP_2)
	v_add_f32_e32 v80, v84, v82
	v_dual_add_f32 v84, v94, v90 :: v_dual_fmamk_f32 v101, v96, 0xbf737871, v85
	v_fmac_f32_e32 v85, 0x3f737871, v96
	s_delay_alu instid0(VALU_DEP_3) | instskip(NEXT) | instid1(VALU_DEP_3)
	v_dual_add_f32 v97, v80, v90 :: v_dual_sub_f32 v80, v87, v83
	v_fma_f32 v81, -0.5, v84, v78
	v_sub_f32_e32 v78, v94, v86
	v_sub_f32_e32 v84, v90, v82
	s_delay_alu instid0(VALU_DEP_4) | instskip(NEXT) | instid1(VALU_DEP_4)
	v_dual_sub_f32 v218, v219, v218 :: v_dual_fmac_f32 v101, 0xbf167918, v80
	v_fmamk_f32 v102, v80, 0x3f737871, v81
	v_fmac_f32_e32 v85, 0x3f167918, v80
	s_delay_alu instid0(VALU_DEP_4) | instskip(SKIP_1) | instid1(VALU_DEP_4)
	v_add_f32_e32 v78, v78, v84
	v_dual_fmac_f32 v81, 0xbf737871, v80 :: v_dual_add_f32 v80, v87, v83
	v_fmac_f32_e32 v102, 0xbf167918, v96
	s_delay_alu instid0(VALU_DEP_3) | instskip(SKIP_1) | instid1(VALU_DEP_4)
	v_dual_add_f32 v84, v104, v105 :: v_dual_fmac_f32 v101, 0x3e9e377a, v78
	v_fmac_f32_e32 v85, 0x3e9e377a, v78
	v_dual_fmac_f32 v81, 0x3f167918, v96 :: v_dual_add_f32 v78, v95, v91
	v_fma_f32 v96, -0.5, v80, v79
	v_sub_f32_e32 v80, v94, v90
	v_fmac_f32_e32 v102, 0x3e9e377a, v84
	v_add_f32_e32 v90, v79, v95
	v_sub_f32_e32 v82, v86, v82
	v_fmac_f32_e32 v79, -0.5, v78
	v_fmac_f32_e32 v81, 0x3e9e377a, v84
	v_fmamk_f32 v94, v80, 0x3f737871, v96
	v_sub_f32_e32 v78, v95, v87
	v_sub_f32_e32 v84, v91, v83
	v_dual_fmamk_f32 v86, v82, 0xbf737871, v79 :: v_dual_sub_f32 v95, v87, v95
	v_dual_sub_f32 v104, v83, v91 :: v_dual_fmac_f32 v79, 0x3f737871, v82
	v_fmac_f32_e32 v94, 0x3f167918, v82
	s_delay_alu instid0(VALU_DEP_4)
	v_add_f32_e32 v78, v78, v84
	v_fmac_f32_e32 v96, 0xbf737871, v80
	v_fmac_f32_e32 v86, 0x3f167918, v80
	v_add_f32_e32 v84, v95, v104
	v_fmac_f32_e32 v79, 0xbf167918, v80
	v_fmac_f32_e32 v94, 0x3e9e377a, v78
	;; [unrolled: 1-line block ×3, first 2 shown]
	v_add_f32_e32 v80, v90, v87
	v_fmac_f32_e32 v86, 0x3e9e377a, v84
	v_fmac_f32_e32 v79, 0x3e9e377a, v84
	v_mul_f32_e32 v90, 0xbf167918, v94
	v_fmac_f32_e32 v96, 0x3e9e377a, v78
	s_delay_alu instid0(VALU_DEP_4) | instskip(NEXT) | instid1(VALU_DEP_4)
	v_dual_add_f32 v80, v80, v83 :: v_dual_mul_f32 v95, 0xbf737871, v86
	v_mul_f32_e32 v104, 0xbf737871, v79
	s_delay_alu instid0(VALU_DEP_4) | instskip(NEXT) | instid1(VALU_DEP_4)
	v_fmac_f32_e32 v90, 0x3f4f1bbd, v101
	v_mul_f32_e32 v105, 0xbf167918, v96
	v_mul_f32_e32 v101, 0x3f167918, v101
	;; [unrolled: 1-line block ×4, first 2 shown]
	v_dual_mul_f32 v108, 0xbf4f1bbd, v96 :: v_dual_add_f32 v91, v80, v91
	v_fmac_f32_e32 v95, 0x3e9e377a, v102
	v_fmac_f32_e32 v104, 0xbe9e377a, v81
	;; [unrolled: 1-line block ×4, first 2 shown]
	v_dual_fmac_f32 v106, 0x3f737871, v102 :: v_dual_fmac_f32 v107, 0x3f737871, v81
	v_fmac_f32_e32 v108, 0x3f167918, v85
	v_add_f32_e32 v78, v88, v97
	v_add_f32_e32 v80, v92, v90
	;; [unrolled: 1-line block ×3, first 2 shown]
	v_dual_add_f32 v86, v89, v105 :: v_dual_add_f32 v79, v103, v91
	v_dual_add_f32 v81, v99, v101 :: v_dual_add_f32 v84, v72, v104
	v_add_f32_e32 v83, v100, v106
	v_dual_add_f32 v85, v73, v107 :: v_dual_sub_f32 v88, v88, v97
	v_sub_f32_e32 v90, v92, v90
	v_sub_f32_e32 v92, v93, v95
	;; [unrolled: 1-line block ×3, first 2 shown]
	v_dual_sub_f32 v96, v89, v105 :: v_dual_sub_f32 v89, v103, v91
	v_sub_f32_e32 v91, v99, v101
	v_sub_f32_e32 v93, v100, v106
	;; [unrolled: 1-line block ×3, first 2 shown]
	v_add_f32_e32 v87, v98, v108
	v_sub_f32_e32 v97, v98, v108
	ds_store_b128 v198, v[116:119]
	ds_store_b128 v198, v[110:113] offset:16
	ds_store_b128 v198, v[120:123] offset:32
	ds_store_b128 v198, v[124:127] offset:48
	ds_store_b128 v198, v[128:131] offset:64
	ds_store_b128 v200, v[74:77]
	ds_store_b128 v200, v[203:206] offset:16
	ds_store_b128 v200, v[207:210] offset:32
	ds_store_b128 v200, v[211:214] offset:48
	ds_store_b128 v200, v[215:218] offset:64
	;; [unrolled: 5-line block ×3, first 2 shown]
	global_wb scope:SCOPE_SE
	s_wait_dscnt 0x0
	s_barrier_signal -1
	s_barrier_wait -1
	global_inv scope:SCOPE_SE
	ds_load_2addr_b64 v[84:87], v197 offset0:30 offset1:35
	ds_load_2addr_b64 v[88:91], v197 offset0:60 offset1:65
	ds_load_2addr_b64 v[80:83], v197 offset1:5
	ds_load_2addr_b64 v[92:95], v197 offset0:90 offset1:95
	ds_load_2addr_b64 v[96:99], v197 offset0:120 offset1:125
	;; [unrolled: 1-line block ×12, first 2 shown]
	global_wb scope:SCOPE_SE
	s_wait_dscnt 0x0
	s_barrier_signal -1
	s_barrier_wait -1
	global_inv scope:SCOPE_SE
	v_mul_f32_e32 v198, v5, v85
	v_dual_mul_f32 v199, v5, v84 :: v_dual_mul_f32 v200, v7, v89
	v_dual_mul_f32 v203, v7, v88 :: v_dual_mul_f32 v204, v9, v87
	s_delay_alu instid0(VALU_DEP_3) | instskip(NEXT) | instid1(VALU_DEP_3)
	v_fmac_f32_e32 v198, v4, v84
	v_fma_f32 v199, v4, v85, -v199
	s_delay_alu instid0(VALU_DEP_4) | instskip(NEXT) | instid1(VALU_DEP_4)
	v_fmac_f32_e32 v200, v6, v88
	v_fma_f32 v88, v6, v89, -v203
	v_mul_f32_e32 v89, v17, v93
	v_dual_mul_f32 v84, v17, v92 :: v_dual_mul_f32 v203, v19, v97
	v_mul_f32_e32 v85, v19, v96
	v_mul_f32_e32 v205, v7, v105
	s_delay_alu instid0(VALU_DEP_4) | instskip(NEXT) | instid1(VALU_DEP_4)
	v_fmac_f32_e32 v89, v16, v92
	v_fma_f32 v92, v16, v93, -v84
	v_fmac_f32_e32 v203, v18, v96
	v_fma_f32 v93, v18, v97, -v85
	v_mul_f32_e32 v96, v11, v91
	v_dual_mul_f32 v97, v1, v95 :: v_dual_fmac_f32 v204, v8, v86
	v_mul_f32_e32 v85, v11, v90
	v_fmac_f32_e32 v205, v6, v104
	s_delay_alu instid0(VALU_DEP_4) | instskip(NEXT) | instid1(VALU_DEP_4)
	v_fmac_f32_e32 v96, v10, v90
	v_fmac_f32_e32 v97, v0, v94
	v_mul_f32_e32 v84, v9, v86
	v_mul_f32_e32 v86, v1, v94
	v_fma_f32 v90, v10, v91, -v85
	v_dual_mul_f32 v94, v3, v99 :: v_dual_mul_f32 v85, v29, v117
	s_delay_alu instid0(VALU_DEP_4) | instskip(NEXT) | instid1(VALU_DEP_4)
	v_fma_f32 v87, v8, v87, -v84
	v_fma_f32 v91, v0, v95, -v86
	v_dual_mul_f32 v84, v3, v98 :: v_dual_mul_f32 v95, v5, v101
	s_delay_alu instid0(VALU_DEP_4) | instskip(SKIP_1) | instid1(VALU_DEP_3)
	v_dual_mul_f32 v5, v5, v100 :: v_dual_fmac_f32 v94, v2, v98
	v_mul_f32_e32 v86, v27, v129
	v_fma_f32 v98, v2, v99, -v84
	s_delay_alu instid0(VALU_DEP_4) | instskip(NEXT) | instid1(VALU_DEP_4)
	v_fmac_f32_e32 v95, v4, v100
	v_fma_f32 v99, v4, v101, -v5
	v_mul_f32_e32 v4, v7, v104
	v_mul_f32_e32 v100, v17, v109
	;; [unrolled: 1-line block ×5, first 2 shown]
	v_sub_f32_e32 v17, v90, v91
	v_fma_f32 v104, v6, v105, -v4
	v_fmac_f32_e32 v100, v16, v108
	v_fma_f32 v105, v16, v109, -v5
	v_fmac_f32_e32 v101, v18, v112
	v_fma_f32 v108, v18, v113, -v7
	v_mul_f32_e32 v109, v9, v103
	v_mul_f32_e32 v4, v9, v102
	v_mul_f32_e32 v112, v11, v107
	v_mul_f32_e32 v5, v11, v106
	v_mul_f32_e32 v113, v1, v111
	v_mul_f32_e32 v1, v1, v110
	v_fmac_f32_e32 v109, v8, v102
	v_fma_f32 v102, v8, v103, -v4
	v_fmac_f32_e32 v112, v10, v106
	v_fma_f32 v103, v10, v107, -v5
	v_dual_fmac_f32 v113, v0, v110 :: v_dual_mul_f32 v106, v3, v115
	v_dual_mul_f32 v3, v3, v114 :: v_dual_mul_f32 v4, v29, v116
	v_fma_f32 v107, v0, v111, -v1
	v_mul_f32_e32 v29, v31, v121
	v_mul_f32_e32 v0, v31, v120
	;; [unrolled: 1-line block ×3, first 2 shown]
	v_dual_mul_f32 v1, v25, v124 :: v_dual_fmac_f32 v106, v2, v114
	v_fma_f32 v110, v2, v115, -v3
	v_fmac_f32_e32 v29, v30, v120
	v_fma_f32 v30, v30, v121, -v0
	v_fmac_f32_e32 v84, v24, v124
	v_fma_f32 v31, v24, v125, -v1
	v_mul_f32_e32 v0, v27, v128
	v_mul_f32_e32 v24, v21, v119
	;; [unrolled: 1-line block ×4, first 2 shown]
	v_dual_mul_f32 v2, v23, v122 :: v_dual_fmac_f32 v85, v28, v116
	v_fma_f32 v28, v28, v117, -v4
	s_delay_alu instid0(VALU_DEP_4) | instskip(NEXT) | instid1(VALU_DEP_4)
	v_fma_f32 v18, v20, v119, -v1
	v_fmac_f32_e32 v21, v22, v122
	s_delay_alu instid0(VALU_DEP_4)
	v_fma_f32 v19, v22, v123, -v2
	v_mul_f32_e32 v22, v13, v127
	v_mul_f32_e32 v1, v13, v126
	v_dual_add_f32 v2, v80, v198 :: v_dual_sub_f32 v13, v93, v92
	v_fmac_f32_e32 v86, v26, v128
	v_fma_f32 v26, v26, v129, -v0
	v_add_f32_e32 v0, v200, v89
	v_dual_fmac_f32 v24, v20, v118 :: v_dual_sub_f32 v3, v199, v93
	v_fma_f32 v20, v12, v127, -v1
	v_add_f32_e32 v1, v2, v200
	s_delay_alu instid0(VALU_DEP_4)
	v_fma_f32 v0, -0.5, v0, v80
	v_sub_f32_e32 v4, v198, v200
	v_dual_sub_f32 v6, v203, v89 :: v_dual_add_f32 v7, v198, v203
	v_fmac_f32_e32 v22, v12, v126
	v_sub_f32_e32 v5, v88, v92
	v_add_f32_e32 v1, v1, v89
	s_delay_alu instid0(VALU_DEP_4)
	v_add_f32_e32 v9, v4, v6
	v_fma_f32 v4, -0.5, v7, v80
	v_sub_f32_e32 v7, v89, v203
	v_add_f32_e32 v10, v81, v199
	v_dual_sub_f32 v12, v200, v89 :: v_dual_sub_f32 v89, v98, v91
	v_fmamk_f32 v2, v3, 0xbf737871, v0
	v_fmac_f32_e32 v0, 0x3f737871, v3
	v_fmamk_f32 v6, v5, 0x3f737871, v4
	v_fmac_f32_e32 v4, 0xbf737871, v5
	v_mul_f32_e32 v8, v15, v130
	v_fmac_f32_e32 v2, 0xbf167918, v5
	v_dual_fmac_f32 v0, 0x3f167918, v5 :: v_dual_add_f32 v5, v10, v88
	v_add_f32_e32 v11, v88, v92
	s_delay_alu instid0(VALU_DEP_4) | instskip(NEXT) | instid1(VALU_DEP_4)
	v_fma_f32 v23, v14, v131, -v8
	v_fmac_f32_e32 v2, 0x3e9e377a, v9
	s_delay_alu instid0(VALU_DEP_4) | instskip(SKIP_3) | instid1(VALU_DEP_4)
	v_dual_fmac_f32 v0, 0x3e9e377a, v9 :: v_dual_add_f32 v9, v5, v92
	v_add_f32_e32 v8, v1, v203
	v_mul_f32_e32 v25, v15, v131
	v_fmac_f32_e32 v6, 0xbf167918, v3
	v_dual_fmac_f32 v4, 0x3f167918, v3 :: v_dual_add_f32 v9, v9, v93
	v_sub_f32_e32 v1, v200, v198
	s_delay_alu instid0(VALU_DEP_4) | instskip(SKIP_2) | instid1(VALU_DEP_4)
	v_fmac_f32_e32 v25, v14, v130
	v_add_f32_e32 v5, v199, v93
	v_sub_f32_e32 v14, v92, v93
	v_dual_sub_f32 v92, v99, v108 :: v_dual_add_f32 v7, v1, v7
	v_fma_f32 v1, -0.5, v11, v81
	v_dual_sub_f32 v11, v198, v203 :: v_dual_sub_f32 v10, v199, v88
	v_fma_f32 v5, -0.5, v5, v81
	v_add_f32_e32 v16, v82, v204
	v_dual_fmac_f32 v6, 0x3e9e377a, v7 :: v_dual_add_f32 v93, v95, v101
	s_delay_alu instid0(VALU_DEP_4) | instskip(SKIP_3) | instid1(VALU_DEP_4)
	v_fmamk_f32 v3, v11, 0x3f737871, v1
	v_fmac_f32_e32 v1, 0xbf737871, v11
	v_dual_add_f32 v13, v10, v13 :: v_dual_fmac_f32 v4, 0x3e9e377a, v7
	v_fmamk_f32 v7, v12, 0xbf737871, v5
	v_fmac_f32_e32 v3, 0x3f167918, v12
	s_delay_alu instid0(VALU_DEP_4)
	v_fmac_f32_e32 v1, 0xbf167918, v12
	v_fmac_f32_e32 v5, 0x3f737871, v12
	v_add_f32_e32 v81, v90, v91
	v_fmac_f32_e32 v7, 0x3f167918, v11
	v_fmac_f32_e32 v3, 0x3e9e377a, v13
	;; [unrolled: 1-line block ×3, first 2 shown]
	v_add_f32_e32 v13, v16, v96
	v_dual_sub_f32 v16, v204, v96 :: v_dual_sub_f32 v27, v94, v97
	v_fmac_f32_e32 v5, 0xbf167918, v11
	v_add_f32_e32 v15, v96, v97
	s_delay_alu instid0(VALU_DEP_4) | instskip(NEXT) | instid1(VALU_DEP_4)
	v_dual_add_f32 v11, v13, v97 :: v_dual_add_f32 v80, v204, v94
	v_add_f32_e32 v13, v16, v27
	v_sub_f32_e32 v27, v97, v94
	s_delay_alu instid0(VALU_DEP_3) | instskip(NEXT) | instid1(VALU_DEP_1)
	v_dual_add_f32 v16, v11, v94 :: v_dual_sub_f32 v11, v96, v204
	v_add_f32_e32 v27, v11, v27
	v_fma_f32 v11, -0.5, v81, v83
	v_sub_f32_e32 v81, v204, v94
	v_sub_f32_e32 v10, v88, v199
	v_sub_f32_e32 v88, v96, v97
	v_sub_f32_e32 v96, v95, v101
	s_delay_alu instid0(VALU_DEP_3) | instskip(SKIP_3) | instid1(VALU_DEP_4)
	v_dual_add_f32 v97, v112, v113 :: v_dual_add_f32 v14, v10, v14
	v_fma_f32 v10, -0.5, v15, v82
	v_sub_f32_e32 v15, v87, v98
	v_fma_f32 v82, -0.5, v80, v82
	v_dual_add_f32 v80, v83, v87 :: v_dual_fmac_f32 v7, 0x3e9e377a, v14
	v_fmac_f32_e32 v5, 0x3e9e377a, v14
	s_delay_alu instid0(VALU_DEP_4) | instskip(SKIP_3) | instid1(VALU_DEP_4)
	v_fmamk_f32 v12, v15, 0xbf737871, v10
	v_fmac_f32_e32 v10, 0x3f737871, v15
	v_fmamk_f32 v14, v17, 0x3f737871, v82
	v_fmac_f32_e32 v82, 0xbf737871, v17
	v_fmac_f32_e32 v12, 0xbf167918, v17
	s_delay_alu instid0(VALU_DEP_4) | instskip(NEXT) | instid1(VALU_DEP_4)
	v_fmac_f32_e32 v10, 0x3f167918, v17
	v_dual_fmac_f32 v14, 0xbf167918, v15 :: v_dual_add_f32 v17, v80, v90
	s_delay_alu instid0(VALU_DEP_4)
	v_fmac_f32_e32 v82, 0x3f167918, v15
	v_sub_f32_e32 v80, v87, v90
	v_fmac_f32_e32 v12, 0x3e9e377a, v13
	v_fmac_f32_e32 v10, 0x3e9e377a, v13
	;; [unrolled: 1-line block ×3, first 2 shown]
	v_add_f32_e32 v15, v17, v91
	v_fmamk_f32 v13, v81, 0x3f737871, v11
	v_dual_add_f32 v17, v87, v98 :: v_dual_fmac_f32 v82, 0x3e9e377a, v27
	v_add_f32_e32 v27, v80, v89
	v_dual_fmac_f32 v11, 0xbf737871, v81 :: v_dual_sub_f32 v80, v90, v87
	v_sub_f32_e32 v87, v91, v98
	v_fmac_f32_e32 v13, 0x3f167918, v88
	v_fmac_f32_e32 v83, -0.5, v17
	s_delay_alu instid0(VALU_DEP_4) | instskip(NEXT) | instid1(VALU_DEP_4)
	v_fmac_f32_e32 v11, 0xbf167918, v88
	v_dual_add_f32 v89, v205, v100 :: v_dual_add_f32 v90, v80, v87
	v_add_f32_e32 v87, v76, v95
	v_fmac_f32_e32 v13, 0x3e9e377a, v27
	s_delay_alu instid0(VALU_DEP_4)
	v_fmac_f32_e32 v11, 0x3e9e377a, v27
	v_add_f32_e32 v17, v15, v98
	v_fmamk_f32 v15, v88, 0xbf737871, v83
	v_add_f32_e32 v27, v87, v205
	v_fma_f32 v80, -0.5, v89, v76
	v_dual_fmac_f32 v83, 0x3f737871, v88 :: v_dual_sub_f32 v88, v104, v105
	v_sub_f32_e32 v89, v95, v205
	v_sub_f32_e32 v91, v101, v100
	v_add_f32_e32 v27, v27, v100
	v_fma_f32 v76, -0.5, v93, v76
	v_fmac_f32_e32 v15, 0x3f167918, v81
	s_delay_alu instid0(VALU_DEP_4) | instskip(NEXT) | instid1(VALU_DEP_4)
	v_dual_fmac_f32 v83, 0xbf167918, v81 :: v_dual_add_f32 v94, v89, v91
	v_add_f32_e32 v89, v27, v101
	s_delay_alu instid0(VALU_DEP_4)
	v_fmamk_f32 v91, v88, 0x3f737871, v76
	v_dual_sub_f32 v81, v100, v101 :: v_dual_fmac_f32 v76, 0xbf737871, v88
	v_add_f32_e32 v101, v109, v106
	v_fmamk_f32 v87, v92, 0xbf737871, v80
	v_dual_fmac_f32 v80, 0x3f737871, v92 :: v_dual_sub_f32 v27, v205, v95
	v_add_f32_e32 v93, v104, v105
	v_fmac_f32_e32 v91, 0xbf167918, v92
	s_delay_alu instid0(VALU_DEP_4) | instskip(NEXT) | instid1(VALU_DEP_4)
	v_fmac_f32_e32 v87, 0xbf167918, v88
	v_fmac_f32_e32 v80, 0x3f167918, v88
	v_fmac_f32_e32 v76, 0x3f167918, v92
	v_dual_add_f32 v92, v99, v108 :: v_dual_fmac_f32 v15, 0x3e9e377a, v90
	v_fmac_f32_e32 v83, 0x3e9e377a, v90
	v_dual_fmac_f32 v87, 0x3e9e377a, v94 :: v_dual_add_f32 v90, v77, v99
	v_add_f32_e32 v27, v27, v81
	v_fma_f32 v81, -0.5, v93, v77
	v_fmac_f32_e32 v80, 0x3e9e377a, v94
	v_sub_f32_e32 v94, v205, v100
	v_sub_f32_e32 v93, v99, v104
	;; [unrolled: 1-line block ×3, first 2 shown]
	v_fma_f32 v77, -0.5, v92, v77
	v_fmac_f32_e32 v91, 0x3e9e377a, v27
	v_fmac_f32_e32 v76, 0x3e9e377a, v27
	s_delay_alu instid0(VALU_DEP_4) | instskip(NEXT) | instid1(VALU_DEP_4)
	v_dual_sub_f32 v100, v102, v110 :: v_dual_add_f32 v27, v93, v95
	v_dual_fmamk_f32 v92, v94, 0xbf737871, v77 :: v_dual_sub_f32 v93, v104, v99
	v_sub_f32_e32 v95, v105, v108
	v_fmac_f32_e32 v77, 0x3f737871, v94
	s_delay_alu instid0(VALU_DEP_2) | instskip(NEXT) | instid1(VALU_DEP_2)
	v_dual_sub_f32 v99, v106, v113 :: v_dual_add_f32 v98, v93, v95
	v_fmac_f32_e32 v77, 0xbf167918, v96
	v_add_f32_e32 v88, v90, v104
	v_add_f32_e32 v95, v78, v109
	v_fma_f32 v93, -0.5, v97, v78
	v_fma_f32 v78, -0.5, v101, v78
	s_delay_alu instid0(VALU_DEP_4) | instskip(SKIP_4) | instid1(VALU_DEP_4)
	v_dual_fmac_f32 v77, 0x3e9e377a, v98 :: v_dual_add_f32 v90, v88, v105
	v_fmamk_f32 v88, v96, 0x3f737871, v81
	v_fmac_f32_e32 v81, 0xbf737871, v96
	v_sub_f32_e32 v97, v109, v112
	v_dual_sub_f32 v105, v112, v113 :: v_dual_add_f32 v104, v103, v107
	v_fmac_f32_e32 v88, 0x3f167918, v94
	s_delay_alu instid0(VALU_DEP_4) | instskip(NEXT) | instid1(VALU_DEP_2)
	v_dual_fmac_f32 v81, 0xbf167918, v94 :: v_dual_sub_f32 v94, v103, v107
	v_dual_add_f32 v101, v79, v102 :: v_dual_fmac_f32 v88, 0x3e9e377a, v27
	s_delay_alu instid0(VALU_DEP_2)
	v_fmac_f32_e32 v81, 0x3e9e377a, v27
	v_add_f32_e32 v27, v95, v112
	v_fmamk_f32 v95, v100, 0xbf737871, v93
	v_fmac_f32_e32 v93, 0x3f737871, v100
	v_fmac_f32_e32 v92, 0x3f167918, v96
	v_dual_add_f32 v96, v97, v99 :: v_dual_fmamk_f32 v99, v94, 0x3f737871, v78
	v_dual_fmac_f32 v78, 0xbf737871, v94 :: v_dual_add_f32 v27, v27, v113
	v_fmac_f32_e32 v95, 0xbf167918, v94
	v_fmac_f32_e32 v93, 0x3f167918, v94
	s_delay_alu instid0(VALU_DEP_4) | instskip(NEXT) | instid1(VALU_DEP_4)
	v_fmac_f32_e32 v99, 0xbf167918, v100
	v_fmac_f32_e32 v78, 0x3f167918, v100
	v_add_f32_e32 v100, v102, v110
	v_fmac_f32_e32 v92, 0x3e9e377a, v98
	v_add_f32_e32 v97, v27, v106
	v_dual_sub_f32 v27, v112, v109 :: v_dual_sub_f32 v98, v113, v106
	v_fma_f32 v94, -0.5, v104, v79
	v_dual_fmac_f32 v79, -0.5, v100 :: v_dual_sub_f32 v104, v109, v106
	s_delay_alu instid0(VALU_DEP_3) | instskip(SKIP_1) | instid1(VALU_DEP_3)
	v_dual_sub_f32 v106, v110, v107 :: v_dual_add_f32 v27, v27, v98
	v_add_f32_e32 v109, v85, v86
	v_fmamk_f32 v100, v105, 0xbf737871, v79
	v_dual_fmac_f32 v79, 0x3f737871, v105 :: v_dual_add_f32 v98, v101, v103
	v_sub_f32_e32 v101, v102, v103
	v_dual_add_f32 v90, v90, v108 :: v_dual_fmac_f32 v99, 0x3e9e377a, v27
	v_fmac_f32_e32 v78, 0x3e9e377a, v27
	v_sub_f32_e32 v108, v28, v26
	s_delay_alu instid0(VALU_DEP_4) | instskip(SKIP_3) | instid1(VALU_DEP_2)
	v_add_f32_e32 v27, v101, v106
	v_sub_f32_e32 v101, v103, v102
	v_dual_sub_f32 v102, v107, v110 :: v_dual_add_f32 v103, v29, v84
	v_add_f32_e32 v106, v72, v85
	v_add_f32_e32 v102, v101, v102
	s_delay_alu instid0(VALU_DEP_3) | instskip(SKIP_2) | instid1(VALU_DEP_3)
	v_fma_f32 v101, -0.5, v103, v72
	v_fma_f32 v72, -0.5, v109, v72
	v_add_f32_e32 v109, v73, v28
	v_fmamk_f32 v103, v108, 0xbf737871, v101
	v_fmac_f32_e32 v101, 0x3f737871, v108
	v_fmac_f32_e32 v100, 0x3f167918, v104
	;; [unrolled: 1-line block ×5, first 2 shown]
	v_fmamk_f32 v96, v104, 0x3f737871, v94
	v_fmac_f32_e32 v100, 0x3e9e377a, v102
	v_fmac_f32_e32 v79, 0x3e9e377a, v102
	v_sub_f32_e32 v102, v84, v86
	v_fmac_f32_e32 v94, 0xbf737871, v104
	v_fmac_f32_e32 v96, 0x3f167918, v105
	s_delay_alu instid0(VALU_DEP_2) | instskip(NEXT) | instid1(VALU_DEP_2)
	v_fmac_f32_e32 v94, 0xbf167918, v105
	v_dual_fmac_f32 v96, 0x3e9e377a, v27 :: v_dual_sub_f32 v105, v85, v29
	s_delay_alu instid0(VALU_DEP_2) | instskip(SKIP_3) | instid1(VALU_DEP_4)
	v_dual_fmac_f32 v94, 0x3e9e377a, v27 :: v_dual_add_f32 v27, v106, v29
	v_sub_f32_e32 v106, v30, v31
	v_add_f32_e32 v98, v98, v107
	v_sub_f32_e32 v107, v86, v84
	v_add_f32_e32 v27, v27, v84
	s_delay_alu instid0(VALU_DEP_4) | instskip(NEXT) | instid1(VALU_DEP_3)
	v_fmac_f32_e32 v103, 0xbf167918, v106
	v_dual_fmac_f32 v101, 0x3f167918, v106 :: v_dual_add_f32 v104, v105, v107
	v_fmamk_f32 v107, v106, 0x3f737871, v72
	v_fmac_f32_e32 v72, 0xbf737871, v106
	v_add_f32_e32 v106, v109, v30
	v_add_f32_e32 v98, v98, v110
	;; [unrolled: 1-line block ×3, first 2 shown]
	v_fmac_f32_e32 v107, 0xbf167918, v108
	v_dual_sub_f32 v27, v29, v85 :: v_dual_add_f32 v110, v30, v31
	v_dual_sub_f32 v85, v85, v86 :: v_dual_add_f32 v86, v106, v31
	v_add_f32_e32 v106, v28, v26
	s_delay_alu instid0(VALU_DEP_3) | instskip(NEXT) | instid1(VALU_DEP_4)
	v_add_f32_e32 v27, v27, v102
	v_fma_f32 v102, -0.5, v110, v73
	v_fmac_f32_e32 v72, 0x3f167918, v108
	v_dual_sub_f32 v29, v29, v84 :: v_dual_sub_f32 v84, v28, v30
	v_sub_f32_e32 v108, v26, v31
	v_fma_f32 v73, -0.5, v106, v73
	v_fmac_f32_e32 v107, 0x3e9e377a, v27
	v_fmac_f32_e32 v72, 0x3e9e377a, v27
	s_delay_alu instid0(VALU_DEP_4) | instskip(NEXT) | instid1(VALU_DEP_4)
	v_dual_add_f32 v106, v86, v26 :: v_dual_add_f32 v27, v84, v108
	v_fmamk_f32 v108, v29, 0xbf737871, v73
	v_sub_f32_e32 v28, v30, v28
	v_dual_sub_f32 v26, v31, v26 :: v_dual_fmac_f32 v73, 0x3f737871, v29
	v_add_f32_e32 v30, v21, v22
	s_delay_alu instid0(VALU_DEP_4) | instskip(SKIP_1) | instid1(VALU_DEP_4)
	v_fmac_f32_e32 v108, 0x3f167918, v85
	v_add_f32_e32 v86, v24, v25
	v_add_f32_e32 v31, v28, v26
	v_fmac_f32_e32 v73, 0xbf167918, v85
	v_fmac_f32_e32 v103, 0x3e9e377a, v104
	v_fmac_f32_e32 v101, 0x3e9e377a, v104
	v_add_f32_e32 v28, v74, v24
	v_fma_f32 v26, -0.5, v30, v74
	v_fmac_f32_e32 v108, 0x3e9e377a, v31
	v_fma_f32 v74, -0.5, v86, v74
	v_fmac_f32_e32 v73, 0x3e9e377a, v31
	v_dual_sub_f32 v31, v21, v24 :: v_dual_sub_f32 v86, v22, v25
	v_fmamk_f32 v104, v85, 0x3f737871, v102
	v_fmac_f32_e32 v102, 0xbf737871, v85
	v_sub_f32_e32 v30, v24, v21
	v_dual_sub_f32 v24, v24, v25 :: v_dual_sub_f32 v85, v19, v20
	s_delay_alu instid0(VALU_DEP_4) | instskip(NEXT) | instid1(VALU_DEP_4)
	v_fmac_f32_e32 v104, 0x3f167918, v29
	v_dual_fmac_f32 v102, 0xbf167918, v29 :: v_dual_sub_f32 v29, v18, v23
	v_sub_f32_e32 v84, v25, v22
	s_delay_alu instid0(VALU_DEP_3) | instskip(NEXT) | instid1(VALU_DEP_3)
	v_fmac_f32_e32 v104, 0x3e9e377a, v27
	v_dual_fmac_f32 v102, 0x3e9e377a, v27 :: v_dual_add_f32 v27, v28, v21
	s_delay_alu instid0(VALU_DEP_4) | instskip(SKIP_2) | instid1(VALU_DEP_3)
	v_fmamk_f32 v28, v29, 0xbf737871, v26
	v_fmac_f32_e32 v26, 0x3f737871, v29
	v_dual_add_f32 v84, v30, v84 :: v_dual_sub_f32 v21, v21, v22
	v_dual_add_f32 v27, v27, v22 :: v_dual_fmac_f32 v28, 0xbf167918, v85
	s_delay_alu instid0(VALU_DEP_3) | instskip(NEXT) | instid1(VALU_DEP_2)
	v_fmac_f32_e32 v26, 0x3f167918, v85
	v_add_f32_e32 v30, v27, v25
	s_delay_alu instid0(VALU_DEP_3) | instskip(NEXT) | instid1(VALU_DEP_3)
	v_fmac_f32_e32 v28, 0x3e9e377a, v84
	v_fmac_f32_e32 v26, 0x3e9e377a, v84
	v_fmamk_f32 v84, v85, 0x3f737871, v74
	v_dual_fmac_f32 v74, 0xbf737871, v85 :: v_dual_add_f32 v85, v75, v18
	v_add_f32_e32 v27, v19, v20
	s_delay_alu instid0(VALU_DEP_3) | instskip(NEXT) | instid1(VALU_DEP_3)
	v_dual_add_f32 v25, v31, v86 :: v_dual_fmac_f32 v84, 0xbf167918, v29
	v_dual_fmac_f32 v74, 0x3f167918, v29 :: v_dual_add_f32 v31, v85, v19
	v_add_f32_e32 v85, v18, v23
	s_delay_alu instid0(VALU_DEP_4) | instskip(NEXT) | instid1(VALU_DEP_4)
	v_fma_f32 v27, -0.5, v27, v75
	v_fmac_f32_e32 v84, 0x3e9e377a, v25
	s_delay_alu instid0(VALU_DEP_4) | instskip(NEXT) | instid1(VALU_DEP_4)
	v_fmac_f32_e32 v74, 0x3e9e377a, v25
	v_dual_add_f32 v22, v31, v20 :: v_dual_fmac_f32 v75, -0.5, v85
	s_delay_alu instid0(VALU_DEP_4)
	v_fmamk_f32 v29, v24, 0x3f737871, v27
	v_sub_f32_e32 v25, v18, v19
	v_sub_f32_e32 v31, v23, v20
	v_fmac_f32_e32 v27, 0xbf737871, v24
	v_dual_fmamk_f32 v85, v21, 0xbf737871, v75 :: v_dual_sub_f32 v18, v19, v18
	v_sub_f32_e32 v19, v20, v23
	v_fmac_f32_e32 v75, 0x3f737871, v21
	v_dual_fmac_f32 v29, 0x3f167918, v21 :: v_dual_add_f32 v20, v25, v31
	v_fmac_f32_e32 v27, 0xbf167918, v21
	s_delay_alu instid0(VALU_DEP_4) | instskip(NEXT) | instid1(VALU_DEP_4)
	v_dual_fmac_f32 v85, 0x3f167918, v24 :: v_dual_add_f32 v18, v18, v19
	v_fmac_f32_e32 v75, 0xbf167918, v24
	v_add_f32_e32 v31, v22, v23
	v_fmac_f32_e32 v29, 0x3e9e377a, v20
	v_fmac_f32_e32 v27, 0x3e9e377a, v20
	;; [unrolled: 1-line block ×4, first 2 shown]
	ds_store_2addr_b64 v197, v[8:9], v[16:17] offset1:5
	ds_store_2addr_b64 v197, v[2:3], v[12:13] offset0:10 offset1:15
	ds_store_2addr_b64 v197, v[6:7], v[14:15] offset0:20 offset1:25
	;; [unrolled: 1-line block ×11, first 2 shown]
	ds_store_b64 v202, v[101:102] offset:1120
	ds_store_2addr_b64 v201, v[30:31], v[28:29] offset0:100 offset1:110
	ds_store_2addr_b64 v201, v[84:85], v[74:75] offset0:120 offset1:130
	ds_store_b64 v201, v[26:27] offset:1120
	global_wb scope:SCOPE_SE
	s_wait_dscnt 0x0
	s_barrier_signal -1
	s_barrier_wait -1
	global_inv scope:SCOPE_SE
	ds_load_2addr_b64 v[0:3], v197 offset0:50 offset1:55
	ds_load_2addr_b64 v[4:7], v197 offset0:100 offset1:105
	ds_load_2addr_b64 v[8:11], v197 offset1:5
	ds_load_2addr_b64 v[12:15], v197 offset0:10 offset1:15
	ds_load_2addr_b64 v[16:19], v197 offset0:60 offset1:65
	;; [unrolled: 1-line block ×12, first 2 shown]
	s_wait_dscnt 0xe
	v_mul_f32_e32 v100, v69, v1
	v_mul_f32_e32 v69, v69, v0
	s_wait_dscnt 0xd
	s_delay_alu instid0(VALU_DEP_2) | instskip(SKIP_1) | instid1(VALU_DEP_3)
	v_dual_mul_f32 v101, v71, v5 :: v_dual_fmac_f32 v100, v68, v0
	v_mul_f32_e32 v0, v71, v4
	v_fma_f32 v1, v68, v1, -v69
	s_delay_alu instid0(VALU_DEP_3) | instskip(SKIP_1) | instid1(VALU_DEP_4)
	v_dual_mul_f32 v68, v65, v3 :: v_dual_fmac_f32 v101, v70, v4
	v_mul_f32_e32 v4, v65, v2
	v_fma_f32 v5, v70, v5, -v0
	v_mul_f32_e32 v65, v67, v7
	s_wait_dscnt 0x1
	v_dual_mul_f32 v69, v35, v99 :: v_dual_fmac_f32 v68, v64, v2
	v_dual_mul_f32 v0, v67, v6 :: v_dual_mul_f32 v67, v61, v17
	s_delay_alu instid0(VALU_DEP_2) | instskip(SKIP_1) | instid1(VALU_DEP_3)
	v_dual_mul_f32 v2, v61, v16 :: v_dual_fmac_f32 v69, v34, v98
	v_mul_f32_e32 v61, v63, v21
	v_fma_f32 v7, v66, v7, -v0
	s_delay_alu instid0(VALU_DEP_4) | instskip(SKIP_4) | instid1(VALU_DEP_4)
	v_fmac_f32_e32 v67, v60, v16
	v_mul_f32_e32 v0, v63, v20
	v_fma_f32 v17, v60, v17, -v2
	v_mul_f32_e32 v60, v57, v19
	v_dual_mul_f32 v2, v57, v18 :: v_dual_fmac_f32 v61, v62, v20
	v_fma_f32 v20, v62, v21, -v0
	v_mul_f32_e32 v0, v59, v22
	s_delay_alu instid0(VALU_DEP_4) | instskip(NEXT) | instid1(VALU_DEP_4)
	v_fmac_f32_e32 v60, v56, v18
	v_fma_f32 v56, v56, v19, -v2
	v_mul_f32_e32 v57, v53, v29
	v_mul_f32_e32 v2, v53, v28
	v_fma_f32 v64, v64, v3, -v4
	v_mul_f32_e32 v21, v59, v23
	v_fma_f32 v23, v58, v23, -v0
	v_mul_f32_e32 v53, v55, v73
	v_fmac_f32_e32 v57, v52, v28
	v_mul_f32_e32 v0, v55, v72
	v_fma_f32 v29, v52, v29, -v2
	v_mul_f32_e32 v52, v49, v31
	v_dual_mul_f32 v2, v49, v30 :: v_dual_add_f32 v19, v12, v67
	v_fmac_f32_e32 v53, v54, v72
	v_fma_f32 v49, v54, v73, -v0
	v_mul_f32_e32 v54, v51, v75
	v_fmac_f32_e32 v52, v48, v30
	v_mul_f32_e32 v0, v51, v74
	v_fma_f32 v48, v48, v31, -v2
	v_mul_f32_e32 v51, v45, v81
	v_dual_add_f32 v4, v1, v5 :: v_dual_add_f32 v31, v15, v56
	v_mul_f32_e32 v2, v45, v80
	v_fma_f32 v45, v50, v75, -v0
	s_delay_alu instid0(VALU_DEP_4)
	v_fmac_f32_e32 v51, v44, v80
	v_mul_f32_e32 v0, v47, v84
	v_sub_f32_e32 v28, v67, v61
	v_fmac_f32_e32 v54, v50, v74
	v_mul_f32_e32 v50, v47, v85
	v_fma_f32 v44, v44, v81, -v2
	v_mul_f32_e32 v2, v41, v82
	v_mul_f32_e32 v47, v41, v83
	v_fma_f32 v41, v46, v85, -v0
	v_fmac_f32_e32 v50, v46, v84
	v_mul_f32_e32 v46, v43, v87
	v_mul_f32_e32 v0, v43, v86
	v_fma_f32 v43, v40, v83, -v2
	s_wait_dscnt 0x0
	v_dual_mul_f32 v2, v37, v92 :: v_dual_fmac_f32 v21, v58, v22
	v_mul_f32_e32 v63, v33, v95
	v_fmac_f32_e32 v65, v66, v6
	v_mul_f32_e32 v55, v37, v93
	s_delay_alu instid0(VALU_DEP_4)
	v_fma_f32 v62, v36, v93, -v2
	v_mul_f32_e32 v2, v33, v94
	v_sub_f32_e32 v33, v29, v49
	v_fma_f32 v58, v42, v87, -v0
	v_mul_f32_e32 v0, v39, v96
	v_mul_f32_e32 v59, v39, v97
	v_fma_f32 v70, v32, v95, -v2
	v_add_f32_e32 v3, v8, v100
	v_sub_f32_e32 v22, v17, v20
	v_fma_f32 v66, v38, v97, -v0
	v_dual_mul_f32 v0, v35, v98 :: v_dual_add_f32 v35, v48, v45
	v_add_f32_e32 v2, v100, v101
	v_fmac_f32_e32 v47, v40, v82
	v_fmac_f32_e32 v55, v36, v92
	s_delay_alu instid0(VALU_DEP_4)
	v_fma_f32 v71, v34, v99, -v0
	v_sub_f32_e32 v6, v1, v5
	v_dual_add_f32 v36, v27, v48 :: v_dual_fmac_f32 v27, -0.5, v35
	v_fma_f32 v0, -0.5, v2, v8
	v_add_f32_e32 v2, v3, v101
	v_add_f32_e32 v3, v9, v1
	v_fma_f32 v1, -0.5, v4, v9
	v_sub_f32_e32 v8, v100, v101
	v_fmamk_f32 v4, v6, 0xbf5db3d7, v0
	s_delay_alu instid0(VALU_DEP_4) | instskip(SKIP_1) | instid1(VALU_DEP_4)
	v_dual_fmac_f32 v0, 0x3f5db3d7, v6 :: v_dual_add_f32 v3, v3, v5
	v_add_f32_e32 v6, v68, v65
	v_fmamk_f32 v5, v8, 0x3f5db3d7, v1
	v_add_f32_e32 v9, v10, v68
	v_dual_fmac_f32 v1, 0xbf5db3d7, v8 :: v_dual_add_f32 v8, v64, v7
	s_delay_alu instid0(VALU_DEP_4) | instskip(SKIP_1) | instid1(VALU_DEP_4)
	v_fma_f32 v10, -0.5, v6, v10
	v_sub_f32_e32 v16, v64, v7
	v_dual_add_f32 v6, v9, v65 :: v_dual_add_f32 v9, v11, v64
	s_delay_alu instid0(VALU_DEP_4) | instskip(NEXT) | instid1(VALU_DEP_3)
	v_dual_fmac_f32 v11, -0.5, v8 :: v_dual_sub_f32 v18, v68, v65
	v_fmamk_f32 v8, v16, 0xbf5db3d7, v10
	s_delay_alu instid0(VALU_DEP_3) | instskip(NEXT) | instid1(VALU_DEP_3)
	v_dual_fmac_f32 v10, 0x3f5db3d7, v16 :: v_dual_add_f32 v7, v9, v7
	v_dual_add_f32 v16, v67, v61 :: v_dual_fmamk_f32 v9, v18, 0x3f5db3d7, v11
	v_dual_fmac_f32 v11, 0xbf5db3d7, v18 :: v_dual_add_f32 v18, v17, v20
	v_sub_f32_e32 v39, v44, v41
	v_add_f32_e32 v17, v13, v17
	s_delay_alu instid0(VALU_DEP_4) | instskip(SKIP_2) | instid1(VALU_DEP_4)
	v_fma_f32 v12, -0.5, v16, v12
	v_fmac_f32_e32 v59, v38, v96
	v_fma_f32 v13, -0.5, v18, v13
	v_dual_sub_f32 v30, v56, v23 :: v_dual_add_f32 v17, v17, v20
	v_add_f32_e32 v20, v60, v21
	v_fmamk_f32 v18, v22, 0xbf5db3d7, v12
	v_fmac_f32_e32 v12, 0x3f5db3d7, v22
	v_add_f32_e32 v22, v14, v60
	v_add_f32_e32 v16, v19, v61
	v_fma_f32 v14, -0.5, v20, v14
	v_fmamk_f32 v19, v28, 0x3f5db3d7, v13
	v_dual_fmac_f32 v13, 0xbf5db3d7, v28 :: v_dual_add_f32 v28, v56, v23
	v_add_f32_e32 v20, v22, v21
	s_delay_alu instid0(VALU_DEP_4)
	v_fmamk_f32 v22, v30, 0xbf5db3d7, v14
	v_fmac_f32_e32 v14, 0x3f5db3d7, v30
	v_add_f32_e32 v56, v91, v70
	v_dual_add_f32 v30, v57, v53 :: v_dual_fmac_f32 v15, -0.5, v28
	v_dual_sub_f32 v28, v60, v21 :: v_dual_add_f32 v21, v31, v23
	v_add_f32_e32 v31, v24, v57
	s_delay_alu instid0(VALU_DEP_3) | instskip(SKIP_1) | instid1(VALU_DEP_4)
	v_fma_f32 v24, -0.5, v30, v24
	v_dual_fmac_f32 v63, v32, v94 :: v_dual_add_f32 v32, v29, v49
	v_fmamk_f32 v23, v28, 0x3f5db3d7, v15
	s_delay_alu instid0(VALU_DEP_3)
	v_dual_fmac_f32 v15, 0xbf5db3d7, v28 :: v_dual_fmamk_f32 v30, v33, 0xbf5db3d7, v24
	v_dual_fmac_f32 v24, 0x3f5db3d7, v33 :: v_dual_add_f32 v33, v52, v54
	v_dual_fmac_f32 v46, v42, v86 :: v_dual_add_f32 v29, v25, v29
	v_fma_f32 v25, -0.5, v32, v25
	v_dual_sub_f32 v32, v57, v53 :: v_dual_sub_f32 v37, v52, v54
	v_dual_sub_f32 v57, v63, v69 :: v_dual_add_f32 v34, v26, v52
	v_fma_f32 v26, -0.5, v33, v26
	v_sub_f32_e32 v33, v48, v45
	s_delay_alu instid0(VALU_DEP_4) | instskip(NEXT) | instid1(VALU_DEP_4)
	v_dual_add_f32 v28, v31, v53 :: v_dual_fmamk_f32 v31, v32, 0x3f5db3d7, v25
	v_dual_fmac_f32 v25, 0xbf5db3d7, v32 :: v_dual_add_f32 v32, v34, v54
	s_delay_alu instid0(VALU_DEP_3)
	v_fmamk_f32 v34, v33, 0xbf5db3d7, v26
	v_fmac_f32_e32 v26, 0x3f5db3d7, v33
	v_dual_add_f32 v33, v36, v45 :: v_dual_add_f32 v36, v51, v50
	v_fmamk_f32 v35, v37, 0x3f5db3d7, v27
	v_fmac_f32_e32 v27, 0xbf5db3d7, v37
	v_dual_add_f32 v37, v44, v41 :: v_dual_add_f32 v42, v77, v44
	s_delay_alu instid0(VALU_DEP_4) | instskip(SKIP_1) | instid1(VALU_DEP_3)
	v_fma_f32 v36, -0.5, v36, v76
	v_dual_sub_f32 v44, v51, v50 :: v_dual_add_f32 v45, v78, v47
	v_fma_f32 v37, -0.5, v37, v77
	s_delay_alu instid0(VALU_DEP_3) | instskip(SKIP_1) | instid1(VALU_DEP_3)
	v_dual_add_f32 v29, v29, v49 :: v_dual_fmamk_f32 v40, v39, 0xbf5db3d7, v36
	v_dual_fmac_f32 v36, 0x3f5db3d7, v39 :: v_dual_add_f32 v39, v42, v41
	v_dual_add_f32 v42, v47, v46 :: v_dual_fmamk_f32 v41, v44, 0x3f5db3d7, v37
	v_dual_fmac_f32 v37, 0xbf5db3d7, v44 :: v_dual_add_f32 v44, v43, v58
	v_sub_f32_e32 v48, v43, v58
	s_delay_alu instid0(VALU_DEP_3) | instskip(SKIP_1) | instid1(VALU_DEP_4)
	v_fma_f32 v78, -0.5, v42, v78
	v_dual_add_f32 v42, v45, v46 :: v_dual_add_f32 v43, v79, v43
	v_dual_fmac_f32 v79, -0.5, v44 :: v_dual_sub_f32 v46, v47, v46
	v_add_f32_e32 v47, v55, v59
	v_dual_add_f32 v49, v62, v66 :: v_dual_add_f32 v38, v76, v51
	v_sub_f32_e32 v51, v62, v66
	s_delay_alu instid0(VALU_DEP_4)
	v_fmamk_f32 v45, v46, 0x3f5db3d7, v79
	v_fmac_f32_e32 v79, 0xbf5db3d7, v46
	v_fma_f32 v46, -0.5, v47, v88
	v_add_f32_e32 v52, v89, v62
	v_fma_f32 v47, -0.5, v49, v89
	v_dual_sub_f32 v53, v55, v59 :: v_dual_add_f32 v38, v38, v50
	s_delay_alu instid0(VALU_DEP_4) | instskip(NEXT) | instid1(VALU_DEP_4)
	v_fmamk_f32 v50, v51, 0xbf5db3d7, v46
	v_dual_fmac_f32 v46, 0x3f5db3d7, v51 :: v_dual_add_f32 v49, v52, v66
	s_delay_alu instid0(VALU_DEP_3)
	v_dual_add_f32 v52, v63, v69 :: v_dual_fmamk_f32 v51, v53, 0x3f5db3d7, v47
	v_fmac_f32_e32 v47, 0xbf5db3d7, v53
	v_dual_add_f32 v53, v70, v71 :: v_dual_fmamk_f32 v44, v48, 0xbf5db3d7, v78
	v_fmac_f32_e32 v78, 0x3f5db3d7, v48
	v_add_f32_e32 v48, v88, v55
	v_add_f32_e32 v54, v90, v63
	v_fma_f32 v90, -0.5, v52, v90
	v_sub_f32_e32 v55, v70, v71
	v_fmac_f32_e32 v91, -0.5, v53
	v_dual_add_f32 v43, v43, v58 :: v_dual_add_f32 v48, v48, v59
	v_add_f32_e32 v52, v54, v69
	s_delay_alu instid0(VALU_DEP_4)
	v_fmamk_f32 v54, v55, 0xbf5db3d7, v90
	v_fmac_f32_e32 v90, 0x3f5db3d7, v55
	v_add_f32_e32 v53, v56, v71
	v_fmamk_f32 v55, v57, 0x3f5db3d7, v91
	v_fmac_f32_e32 v91, 0xbf5db3d7, v57
	ds_store_b64 v197, v[4:5] offset:400
	ds_store_b64 v197, v[0:1] offset:800
	ds_store_2addr_b64 v197, v[2:3], v[6:7] offset1:5
	ds_store_2addr_b64 v197, v[8:9], v[18:19] offset0:55 offset1:60
	ds_store_2addr_b64 v197, v[10:11], v[12:13] offset0:105 offset1:110
	;; [unrolled: 1-line block ×12, first 2 shown]
	ds_store_b64 v197, v[54:55] offset:760
	ds_store_b64 v197, v[90:91] offset:1160
	global_wb scope:SCOPE_SE
	s_wait_dscnt 0x0
	s_barrier_signal -1
	s_barrier_wait -1
	global_inv scope:SCOPE_SE
	ds_load_2addr_b64 v[14:17], v197 offset1:5
	ds_load_2addr_b64 v[4:7], v197 offset0:10 offset1:15
	ds_load_2addr_b64 v[18:21], v197 offset0:30 offset1:35
	;; [unrolled: 1-line block ×4, first 2 shown]
	v_mad_co_u64_u32 v[42:43], null, s6, v148, 0
	ds_load_2addr_b64 v[26:29], v197 offset0:90 offset1:95
	v_mad_co_u64_u32 v[44:45], null, s4, v196, 0
	s_wait_dscnt 0x5
	v_mul_f32_e32 v8, v190, v15
	s_wait_dscnt 0x4
	v_dual_mul_f32 v10, v188, v7 :: v_dual_mul_f32 v9, v190, v14
	s_wait_dscnt 0x3
	v_mul_f32_e32 v11, v186, v19
	v_mul_f32_e32 v68, v154, v5
	v_fmac_f32_e32 v8, v189, v14
	v_fmac_f32_e32 v10, v187, v6
	v_mul_f32_e32 v6, v188, v6
	v_fma_f32 v9, v189, v15, -v9
	v_fmac_f32_e32 v11, v185, v18
	v_cvt_f64_f32_e32 v[14:15], v8
	s_wait_dscnt 0x2
	v_mul_f32_e32 v8, v192, v3
	v_fma_f32 v6, v187, v7, -v6
	v_mul_f32_e32 v7, v186, v18
	v_cvt_f64_f32_e32 v[30:31], v9
	v_mul_f32_e32 v9, v192, v2
	v_cvt_f64_f32_e32 v[32:33], v10
	v_cvt_f64_f32_e32 v[34:35], v6
	v_fma_f32 v6, v185, v19, -v7
	v_fmac_f32_e32 v8, v191, v2
	v_fma_f32 v7, v191, v3, -v9
	v_cvt_f64_f32_e32 v[36:37], v11
	s_wait_dscnt 0x1
	v_mul_f32_e32 v9, v184, v23
	v_mul_f32_e32 v10, v184, v22
	v_cvt_f64_f32_e32 v[2:3], v6
	v_cvt_f64_f32_e32 v[18:19], v8
	;; [unrolled: 1-line block ×3, first 2 shown]
	v_fmac_f32_e32 v9, v183, v22
	v_fma_f32 v6, v183, v23, -v10
	ds_load_2addr_b64 v[10:13], v197 offset0:70 offset1:75
	v_mul_f32_e32 v69, v154, v4
	v_fmac_f32_e32 v68, v153, v4
	v_cvt_f64_f32_e32 v[22:23], v9
	v_cvt_f64_f32_e32 v[40:41], v6
	v_dual_mov_b32 v6, v43 :: v_dual_mov_b32 v43, v45
	s_wait_dscnt 0x1
	v_mul_f32_e32 v45, v176, v27
	v_fma_f32 v69, v153, v5, -v69
	s_delay_alu instid0(VALU_DEP_3) | instskip(SKIP_3) | instid1(VALU_DEP_1)
	v_mad_co_u64_u32 v[46:47], null, s7, v148, v[6:7]
	ds_load_2addr_b64 v[6:9], v197 offset0:100 offset1:105
	v_fmac_f32_e32 v45, v175, v26
	s_mul_u64 s[6:7], s[4:5], 0xf0
	v_cvt_f64_f32_e32 v[57:58], v45
	s_wait_alu 0xfffe
	v_mul_f64_e32 v[14:15], s[0:1], v[14:15]
	v_mul_f64_e32 v[47:48], s[0:1], v[30:31]
	;; [unrolled: 1-line block ×3, first 2 shown]
	ds_load_2addr_b64 v[30:33], v197 offset0:120 offset1:125
	v_mul_f64_e32 v[34:35], s[0:1], v[34:35]
	v_mul_f64_e32 v[36:37], s[0:1], v[36:37]
	;; [unrolled: 1-line block ×5, first 2 shown]
	s_wait_dscnt 0x2
	v_mul_f32_e32 v3, v178, v12
	v_mul_f32_e32 v2, v178, v13
	s_delay_alu instid0(VALU_DEP_2) | instskip(NEXT) | instid1(VALU_DEP_2)
	v_fma_f32 v3, v177, v13, -v3
	v_fmac_f32_e32 v2, v177, v12
	v_mul_f32_e32 v12, v176, v26
	v_mul_f64_e32 v[22:23], s[0:1], v[22:23]
	v_mul_f64_e32 v[40:41], s[0:1], v[40:41]
	s_wait_dscnt 0x1
	v_mul_f32_e32 v13, v182, v9
	v_cvt_f64_f32_e32 v[55:56], v3
	v_mul_f32_e32 v3, v182, v8
	v_cvt_f64_f32_e32 v[53:54], v2
	v_fma_f32 v2, v175, v27, -v12
	s_wait_dscnt 0x0
	v_dual_mul_f32 v12, v174, v31 :: v_dual_fmac_f32 v13, v181, v8
	v_mul_f32_e32 v8, v174, v30
	v_fma_f32 v9, v181, v9, -v3
	v_cvt_f64_f32_e32 v[26:27], v2
	s_delay_alu instid0(VALU_DEP_4)
	v_fmac_f32_e32 v12, v173, v30
	v_cvt_f64_f32_e32 v[59:60], v13
	v_fma_f32 v13, v173, v31, -v8
	v_cvt_f64_f32_e32 v[8:9], v9
	v_mad_co_u64_u32 v[2:3], null, s5, v196, v[43:44]
	v_cvt_f64_f32_e32 v[30:31], v12
	v_mov_b32_e32 v43, v46
	v_cvt_f64_f32_e32 v[61:62], v13
	v_cvt_f32_f64_e32 v46, v[49:50]
	v_mul_f32_e32 v64, v158, v33
	v_mul_f32_e32 v65, v158, v32
	v_mov_b32_e32 v45, v2
	v_lshlrev_b64_e32 v[2:3], 3, v[42:43]
	v_cvt_f32_f64_e32 v42, v[14:15]
	ds_load_2addr_b64 v[12:15], v197 offset0:130 offset1:135
	v_cvt_f32_f64_e32 v43, v[47:48]
	v_cvt_f32_f64_e32 v47, v[34:35]
	;; [unrolled: 1-line block ×6, first 2 shown]
	v_mul_f64_e32 v[48:49], s[0:1], v[57:58]
	v_lshlrev_b64_e32 v[44:45], 3, v[44:45]
	v_add_co_u32 v2, vcc_lo, s2, v2
	v_cvt_f32_f64_e32 v22, v[22:23]
	v_cvt_f32_f64_e32 v23, v[40:41]
	s_wait_alu 0xfffd
	v_add_co_ci_u32_e32 v3, vcc_lo, s3, v3, vcc_lo
	v_add_co_u32 v44, vcc_lo, v2, v44
	v_mul_f64_e32 v[38:39], s[0:1], v[53:54]
	s_wait_alu 0xfffd
	s_delay_alu instid0(VALU_DEP_3)
	v_add_co_ci_u32_e32 v45, vcc_lo, v3, v45, vcc_lo
	s_wait_dscnt 0x0
	v_mul_f32_e32 v36, v180, v15
	v_mul_f64_e32 v[40:41], s[0:1], v[55:56]
	v_mul_f32_e32 v37, v180, v14
	s_mul_u64 s[2:3], s[4:5], 0x78
	v_mul_f64_e32 v[26:27], s[0:1], v[26:27]
	v_mul_f64_e32 v[50:51], s[0:1], v[59:60]
	;; [unrolled: 1-line block ×3, first 2 shown]
	v_fmac_f32_e32 v36, v179, v14
	s_wait_alu 0xfffe
	v_add_co_u32 v14, vcc_lo, v44, s2
	v_mul_f64_e32 v[30:31], s[0:1], v[30:31]
	v_fma_f32 v37, v179, v15, -v37
	s_wait_alu 0xfffd
	v_add_co_ci_u32_e32 v15, vcc_lo, s3, v45, vcc_lo
	v_cvt_f64_f32_e32 v[54:55], v36
	v_add_co_u32 v36, vcc_lo, v14, s2
	v_cvt_f64_f32_e32 v[56:57], v37
	s_wait_alu 0xfffd
	v_add_co_ci_u32_e32 v37, vcc_lo, s3, v15, vcc_lo
	v_mul_f64_e32 v[52:53], s[0:1], v[61:62]
	v_add_co_u32 v58, vcc_lo, v36, s2
	s_wait_alu 0xfffd
	s_delay_alu instid0(VALU_DEP_3)
	v_add_co_ci_u32_e32 v59, vcc_lo, s3, v37, vcc_lo
	s_clause 0x3
	global_store_b64 v[44:45], v[42:43], off
	global_store_b64 v[14:15], v[46:47], off
	;; [unrolled: 1-line block ×4, first 2 shown]
	ds_load_2addr_b64 v[34:37], v197 offset0:20 offset1:25
	v_add_co_u32 v42, vcc_lo, v58, s2
	s_wait_alu 0xfffd
	v_add_co_ci_u32_e32 v43, vcc_lo, s3, v59, vcc_lo
	v_mul_f32_e32 v44, v172, v16
	v_mad_co_u64_u32 v[18:19], null, s4, v195, 0
	global_store_b64 v[42:43], v[22:23], off
	v_cvt_f32_f64_e32 v22, v[48:49]
	v_mul_f32_e32 v48, v172, v17
	v_cvt_f32_f64_e32 v14, v[38:39]
	v_cvt_f32_f64_e32 v15, v[40:41]
	ds_load_2addr_b64 v[38:41], v197 offset0:50 offset1:55
	v_fmac_f32_e32 v64, v157, v32
	v_fmac_f32_e32 v48, v171, v16
	v_fma_f32 v16, v171, v17, -v44
	v_cvt_f32_f64_e32 v23, v[26:27]
	v_cvt_f32_f64_e32 v26, v[50:51]
	;; [unrolled: 1-line block ×3, first 2 shown]
	s_wait_dscnt 0x1
	v_mul_f32_e32 v17, v168, v35
	v_cvt_f64_f32_e32 v[50:51], v16
	v_mul_f32_e32 v16, v168, v34
	v_cvt_f32_f64_e32 v8, v[30:31]
	v_mad_co_u64_u32 v[30:31], null, s5, v195, v[19:20]
	v_cvt_f64_f32_e32 v[48:49], v48
	v_fmac_f32_e32 v17, v167, v34
	v_mul_f32_e32 v19, v170, v21
	v_mul_f32_e32 v31, v170, v20
	v_fma_f32 v16, v167, v35, -v16
	v_cvt_f32_f64_e32 v9, v[52:53]
	v_mul_f64_e32 v[44:45], s[0:1], v[54:55]
	v_cvt_f64_f32_e32 v[52:53], v17
	v_fmac_f32_e32 v19, v169, v20
	v_fma_f32 v17, v169, v21, -v31
	v_cvt_f64_f32_e32 v[20:21], v16
	v_mul_f64_e32 v[46:47], s[0:1], v[56:57]
	s_wait_dscnt 0x0
	v_mul_f32_e32 v56, v162, v39
	v_mul_f32_e32 v31, v162, v38
	v_add_co_u32 v16, vcc_lo, v42, s2
	v_cvt_f64_f32_e32 v[54:55], v17
	s_delay_alu instid0(VALU_DEP_4) | instskip(NEXT) | instid1(VALU_DEP_4)
	v_fmac_f32_e32 v56, v161, v38
	v_fma_f32 v31, v161, v39, -v31
	s_wait_alu 0xfffd
	v_add_co_ci_u32_e32 v17, vcc_lo, s3, v43, vcc_lo
	v_add_co_u32 v38, vcc_lo, v16, s2
	v_cvt_f64_f32_e32 v[34:35], v19
	v_cvt_f64_f32_e32 v[56:57], v56
	v_mov_b32_e32 v19, v30
	v_cvt_f64_f32_e32 v[30:31], v31
	s_wait_alu 0xfffd
	v_add_co_ci_u32_e32 v39, vcc_lo, s3, v17, vcc_lo
	v_add_co_u32 v42, vcc_lo, v38, s2
	v_lshlrev_b64_e32 v[18:19], 3, v[18:19]
	s_wait_alu 0xfffd
	s_delay_alu instid0(VALU_DEP_3)
	v_add_co_ci_u32_e32 v43, vcc_lo, s3, v39, vcc_lo
	global_store_b64 v[16:17], v[14:15], off
	global_store_b64 v[38:39], v[22:23], off
	;; [unrolled: 1-line block ×3, first 2 shown]
	ds_load_2addr_b64 v[14:17], v197 offset0:80 offset1:85
	v_add_co_u32 v18, vcc_lo, v2, v18
	s_wait_alu 0xfffd
	v_add_co_ci_u32_e32 v19, vcc_lo, v3, v19, vcc_lo
	v_mul_f64_e32 v[22:23], s[0:1], v[48:49]
	v_mul_f64_e32 v[26:27], s[0:1], v[50:51]
	v_mul_f32_e32 v50, v164, v25
	global_store_b64 v[18:19], v[8:9], off
	v_cvt_f32_f64_e32 v8, v[44:45]
	v_add_co_u32 v38, vcc_lo, v42, s6
	v_mul_f64_e32 v[44:45], s[0:1], v[20:21]
	ds_load_2addr_b64 v[18:21], v197 offset0:110 offset1:115
	s_wait_alu 0xfffd
	v_add_co_ci_u32_e32 v39, vcc_lo, s7, v43, vcc_lo
	v_mul_f64_e32 v[42:43], s[0:1], v[52:53]
	v_fmac_f32_e32 v50, v163, v24
	v_mul_f32_e32 v24, v164, v24
	v_cvt_f32_f64_e32 v9, v[46:47]
	s_wait_dscnt 0x1
	v_mul_f32_e32 v53, v156, v14
	v_mul_f32_e32 v52, v156, v15
	v_cvt_f64_f32_e32 v[50:51], v50
	v_fma_f32 v24, v163, v25, -v24
	v_mul_f64_e32 v[46:47], s[0:1], v[54:55]
	v_fma_f32 v25, v155, v15, -v53
	v_mul_f64_e32 v[34:35], s[0:1], v[34:35]
	v_mul_f64_e32 v[48:49], s[0:1], v[56:57]
	;; [unrolled: 1-line block ×3, first 2 shown]
	v_fmac_f32_e32 v52, v155, v14
	v_cvt_f64_f32_e32 v[54:55], v25
	v_mul_f32_e32 v56, v166, v29
	v_mul_f32_e32 v57, v166, v28
	s_wait_dscnt 0x0
	v_mul_f32_e32 v25, v160, v19
	v_mul_f32_e32 v60, v160, v18
	v_cvt_f64_f32_e32 v[52:53], v52
	v_cvt_f64_f32_e32 v[14:15], v24
	s_delay_alu instid0(VALU_DEP_4) | instskip(NEXT) | instid1(VALU_DEP_4)
	v_dual_fmac_f32 v56, v165, v28 :: v_dual_fmac_f32 v25, v159, v18
	v_fma_f32 v19, v159, v19, -v60
	v_fma_f32 v24, v165, v29, -v57
	v_mul_f32_e32 v70, v150, v37
	s_delay_alu instid0(VALU_DEP_4)
	v_cvt_f64_f32_e32 v[56:57], v56
	v_cvt_f64_f32_e32 v[60:61], v25
	v_cvt_f64_f32_e32 v[62:63], v19
	v_cvt_f64_f32_e32 v[58:59], v24
	v_cvt_f32_f64_e32 v18, v[22:23]
	ds_load_2addr_b64 v[22:25], v197 offset0:140 offset1:145
	v_cvt_f32_f64_e32 v19, v[26:27]
	v_fma_f32 v65, v157, v33, -v65
	v_cvt_f32_f64_e32 v27, v[44:45]
	v_mul_f32_e32 v71, v150, v36
	v_fmac_f32_e32 v70, v149, v36
	v_mad_co_u64_u32 v[28:29], null, 0xfffffbf0, s4, v[38:39]
	v_cvt_f32_f64_e32 v26, v[42:43]
	s_delay_alu instid0(VALU_DEP_4)
	v_fma_f32 v71, v149, v37, -v71
	v_cvt_f64_f32_e32 v[36:37], v69
	v_mul_f64_e32 v[50:51], s[0:1], v[50:51]
	v_add_nc_u32_e32 v29, s8, v29
	v_add_co_u32 v42, vcc_lo, v28, s2
	v_cvt_f32_f64_e32 v34, v[34:35]
	v_cvt_f32_f64_e32 v35, v[46:47]
	v_cvt_f32_f64_e32 v46, v[48:49]
	s_wait_dscnt 0x0
	v_mul_f32_e32 v66, v152, v23
	v_cvt_f32_f64_e32 v47, v[30:31]
	v_mul_f64_e32 v[54:55], s[0:1], v[54:55]
	s_wait_alu 0xfffd
	v_add_co_ci_u32_e32 v43, vcc_lo, s3, v29, vcc_lo
	v_fmac_f32_e32 v66, v151, v22
	v_mul_f32_e32 v22, v152, v22
	v_mul_f64_e32 v[52:53], s[0:1], v[52:53]
	v_mul_f64_e32 v[14:15], s[0:1], v[14:15]
	v_add_co_u32 v44, vcc_lo, v42, s2
	s_delay_alu instid0(VALU_DEP_4)
	v_fma_f32 v22, v151, v23, -v22
	v_cvt_f64_f32_e32 v[66:67], v66
	v_mul_f64_e32 v[56:57], s[0:1], v[56:57]
	v_mul_f64_e32 v[32:33], s[0:1], v[60:61]
	;; [unrolled: 1-line block ×3, first 2 shown]
	v_cvt_f64_f32_e32 v[62:63], v64
	v_cvt_f64_f32_e32 v[64:65], v65
	;; [unrolled: 1-line block ×5, first 2 shown]
	v_mul_f64_e32 v[58:59], s[0:1], v[58:59]
	v_cvt_f64_f32_e32 v[70:71], v71
	s_wait_alu 0xfffd
	v_add_co_ci_u32_e32 v45, vcc_lo, s3, v43, vcc_lo
	v_add_co_u32 v48, vcc_lo, v44, s2
	v_mad_co_u64_u32 v[30:31], null, s4, v194, 0
	s_wait_alu 0xfffd
	s_delay_alu instid0(VALU_DEP_3)
	v_add_co_ci_u32_e32 v49, vcc_lo, s3, v45, vcc_lo
	global_store_b64 v[38:39], v[8:9], off
	global_store_b64 v[28:29], v[18:19], off
	;; [unrolled: 1-line block ×5, first 2 shown]
	v_cvt_f32_f64_e32 v8, v[50:51]
	v_mul_f32_e32 v50, v135, v1
	v_mul_f64_e32 v[36:37], s[0:1], v[36:37]
	v_cvt_f32_f64_e32 v19, v[54:55]
	v_mul_f32_e32 v54, v147, v11
	s_delay_alu instid0(VALU_DEP_4)
	v_fmac_f32_e32 v50, v134, v0
	v_mul_f32_e32 v0, v135, v0
	v_mul_f32_e32 v55, v147, v10
	v_cvt_f32_f64_e32 v18, v[52:53]
	v_mul_f32_e32 v52, v133, v41
	v_mul_f32_e32 v53, v133, v40
	v_fma_f32 v0, v134, v1, -v0
	v_cvt_f64_f32_e32 v[50:51], v50
	v_mul_f64_e32 v[44:45], s[0:1], v[66:67]
	v_fmac_f32_e32 v52, v132, v40
	v_mad_co_u64_u32 v[72:73], null, s5, v194, v[31:32]
	v_cvt_f32_f64_e32 v32, v[32:33]
	v_cvt_f32_f64_e32 v33, v[60:61]
	v_mul_f64_e32 v[38:39], s[0:1], v[62:63]
	v_mul_f64_e32 v[42:43], s[0:1], v[64:65]
	;; [unrolled: 1-line block ×4, first 2 shown]
	v_fma_f32 v40, v132, v41, -v53
	v_cvt_f64_f32_e32 v[0:1], v0
	v_mul_f32_e32 v60, v137, v21
	v_mul_f64_e32 v[4:5], s[0:1], v[4:5]
	v_cvt_f32_f64_e32 v28, v[56:57]
	v_mul_f32_e32 v56, v143, v17
	v_mul_f32_e32 v57, v143, v16
	v_cvt_f32_f64_e32 v29, v[58:59]
	v_mul_f32_e32 v59, v145, v6
	v_mul_f32_e32 v58, v145, v7
	v_fmac_f32_e32 v54, v146, v10
	v_fma_f32 v55, v146, v11, -v55
	v_cvt_f64_f32_e32 v[10:11], v52
	v_cvt_f64_f32_e32 v[40:41], v40
	v_fmac_f32_e32 v60, v136, v20
	v_mul_f32_e32 v20, v137, v20
	v_mul_f32_e32 v62, v139, v13
	v_dual_mul_f32 v63, v139, v12 :: v_dual_mul_f32 v64, v141, v25
	v_mul_f32_e32 v65, v141, v24
	v_cvt_f32_f64_e32 v9, v[14:15]
	v_add_co_u32 v14, vcc_lo, v48, s2
	v_fmac_f32_e32 v56, v142, v16
	v_fma_f32 v16, v142, v17, -v57
	v_fmac_f32_e32 v58, v144, v6
	v_fma_f32 v59, v144, v7, -v59
	s_wait_alu 0xfffd
	v_add_co_ci_u32_e32 v15, vcc_lo, s3, v49, vcc_lo
	v_mul_f64_e32 v[48:49], s[0:1], v[70:71]
	v_cvt_f64_f32_e32 v[52:53], v54
	v_cvt_f64_f32_e32 v[54:55], v55
	v_fma_f32 v20, v136, v21, -v20
	v_fmac_f32_e32 v62, v138, v12
	v_fma_f32 v63, v138, v13, -v63
	v_fmac_f32_e32 v64, v140, v24
	v_fma_f32 v65, v140, v25, -v65
	v_cvt_f64_f32_e32 v[6:7], v56
	v_cvt_f64_f32_e32 v[16:17], v16
	;; [unrolled: 1-line block ×10, first 2 shown]
	v_mov_b32_e32 v31, v72
	v_cvt_f32_f64_e32 v38, v[38:39]
	v_cvt_f32_f64_e32 v39, v[42:43]
	;; [unrolled: 1-line block ×5, first 2 shown]
	v_mul_f64_e32 v[46:47], s[0:1], v[50:51]
	v_mul_f64_e32 v[0:1], s[0:1], v[0:1]
	v_cvt_f32_f64_e32 v44, v[44:45]
	v_cvt_f32_f64_e32 v45, v[4:5]
	v_lshlrev_b64_e32 v[26:27], 3, v[30:31]
	v_add_co_u32 v30, vcc_lo, v14, s6
	v_mul_f64_e32 v[10:11], s[0:1], v[10:11]
	v_mul_f64_e32 v[40:41], s[0:1], v[40:41]
	s_wait_alu 0xfffd
	v_add_co_ci_u32_e32 v31, vcc_lo, s7, v15, vcc_lo
	v_add_co_u32 v34, vcc_lo, v30, s2
	v_cvt_f32_f64_e32 v37, v[48:49]
	v_mul_f64_e32 v[50:51], s[0:1], v[52:53]
	v_mul_f64_e32 v[52:53], s[0:1], v[54:55]
	s_wait_alu 0xfffd
	v_add_co_ci_u32_e32 v35, vcc_lo, s3, v31, vcc_lo
	v_add_co_u32 v42, vcc_lo, v34, s2
	v_mul_f64_e32 v[6:7], s[0:1], v[6:7]
	v_mul_f64_e32 v[16:17], s[0:1], v[16:17]
	;; [unrolled: 1-line block ×8, first 2 shown]
	s_wait_alu 0xfffd
	v_add_co_ci_u32_e32 v43, vcc_lo, s3, v35, vcc_lo
	v_mul_f64_e32 v[60:61], s[0:1], v[62:63]
	v_mul_f64_e32 v[62:63], s[0:1], v[64:65]
	v_add_co_u32 v4, vcc_lo, v42, s2
	s_wait_alu 0xfffd
	v_add_co_ci_u32_e32 v5, vcc_lo, s3, v43, vcc_lo
	v_add_co_u32 v26, vcc_lo, v2, v26
	s_wait_alu 0xfffd
	v_add_co_ci_u32_e32 v27, vcc_lo, v3, v27, vcc_lo
	s_delay_alu instid0(VALU_DEP_3)
	v_mad_co_u64_u32 v[48:49], null, 0xfffffbf0, s4, v[4:5]
	global_store_b64 v[14:15], v[8:9], off
	global_store_b64 v[26:27], v[18:19], off
	;; [unrolled: 1-line block ×4, first 2 shown]
	v_mad_co_u64_u32 v[8:9], null, s4, v193, 0
	v_cvt_f32_f64_e32 v18, v[46:47]
	v_cvt_f32_f64_e32 v19, v[0:1]
	v_add_nc_u32_e32 v49, s8, v49
	global_store_b64 v[42:43], v[38:39], off
	global_store_b64 v[4:5], v[44:45], off
	;; [unrolled: 1-line block ×3, first 2 shown]
	v_mov_b32_e32 v4, v9
	v_add_co_u32 v14, vcc_lo, v48, s2
	s_wait_alu 0xfffd
	v_add_co_ci_u32_e32 v15, vcc_lo, s3, v49, vcc_lo
	s_delay_alu instid0(VALU_DEP_3)
	v_mad_co_u64_u32 v[0:1], null, s5, v193, v[4:5]
	v_cvt_f32_f64_e32 v4, v[10:11]
	v_cvt_f32_f64_e32 v5, v[40:41]
	v_add_co_u32 v10, vcc_lo, v14, s6
	global_store_b64 v[14:15], v[36:37], off
	s_wait_alu 0xfffd
	v_add_co_ci_u32_e32 v11, vcc_lo, s7, v15, vcc_lo
	v_cvt_f32_f64_e32 v14, v[50:51]
	v_cvt_f32_f64_e32 v15, v[52:53]
	;; [unrolled: 1-line block ×12, first 2 shown]
	v_mov_b32_e32 v9, v0
	v_add_co_u32 v0, vcc_lo, v10, s2
	s_wait_alu 0xfffd
	v_add_co_ci_u32_e32 v1, vcc_lo, s3, v11, vcc_lo
	s_delay_alu instid0(VALU_DEP_3) | instskip(NEXT) | instid1(VALU_DEP_3)
	v_lshlrev_b64_e32 v[8:9], 3, v[8:9]
	v_add_co_u32 v24, vcc_lo, v0, s2
	s_wait_alu 0xfffd
	s_delay_alu instid0(VALU_DEP_3) | instskip(NEXT) | instid1(VALU_DEP_3)
	v_add_co_ci_u32_e32 v25, vcc_lo, s3, v1, vcc_lo
	v_add_co_u32 v2, vcc_lo, v2, v8
	s_wait_alu 0xfffd
	v_add_co_ci_u32_e32 v3, vcc_lo, v3, v9, vcc_lo
	v_add_co_u32 v8, vcc_lo, v24, s2
	s_wait_alu 0xfffd
	v_add_co_ci_u32_e32 v9, vcc_lo, s3, v25, vcc_lo
	global_store_b64 v[2:3], v[18:19], off
	v_add_co_u32 v2, vcc_lo, v8, s2
	s_wait_alu 0xfffd
	v_add_co_ci_u32_e32 v3, vcc_lo, s3, v9, vcc_lo
	global_store_b64 v[10:11], v[4:5], off
	;; [unrolled: 4-line block ×4, first 2 shown]
	global_store_b64 v[8:9], v[16:17], off
	global_store_b64 v[2:3], v[22:23], off
	;; [unrolled: 1-line block ×4, first 2 shown]
.LBB0_2:
	s_nop 0
	s_sendmsg sendmsg(MSG_DEALLOC_VGPRS)
	s_endpgm
	.section	.rodata,"a",@progbits
	.p2align	6, 0x0
	.amdhsa_kernel bluestein_single_fwd_len150_dim1_sp_op_CI_CI
		.amdhsa_group_segment_fixed_size 14400
		.amdhsa_private_segment_fixed_size 0
		.amdhsa_kernarg_size 104
		.amdhsa_user_sgpr_count 2
		.amdhsa_user_sgpr_dispatch_ptr 0
		.amdhsa_user_sgpr_queue_ptr 0
		.amdhsa_user_sgpr_kernarg_segment_ptr 1
		.amdhsa_user_sgpr_dispatch_id 0
		.amdhsa_user_sgpr_private_segment_size 0
		.amdhsa_wavefront_size32 1
		.amdhsa_uses_dynamic_stack 0
		.amdhsa_enable_private_segment 0
		.amdhsa_system_sgpr_workgroup_id_x 1
		.amdhsa_system_sgpr_workgroup_id_y 0
		.amdhsa_system_sgpr_workgroup_id_z 0
		.amdhsa_system_sgpr_workgroup_info 0
		.amdhsa_system_vgpr_workitem_id 0
		.amdhsa_next_free_vgpr 247
		.amdhsa_next_free_sgpr 20
		.amdhsa_reserve_vcc 1
		.amdhsa_float_round_mode_32 0
		.amdhsa_float_round_mode_16_64 0
		.amdhsa_float_denorm_mode_32 3
		.amdhsa_float_denorm_mode_16_64 3
		.amdhsa_fp16_overflow 0
		.amdhsa_workgroup_processor_mode 1
		.amdhsa_memory_ordered 1
		.amdhsa_forward_progress 0
		.amdhsa_round_robin_scheduling 0
		.amdhsa_exception_fp_ieee_invalid_op 0
		.amdhsa_exception_fp_denorm_src 0
		.amdhsa_exception_fp_ieee_div_zero 0
		.amdhsa_exception_fp_ieee_overflow 0
		.amdhsa_exception_fp_ieee_underflow 0
		.amdhsa_exception_fp_ieee_inexact 0
		.amdhsa_exception_int_div_zero 0
	.end_amdhsa_kernel
	.text
.Lfunc_end0:
	.size	bluestein_single_fwd_len150_dim1_sp_op_CI_CI, .Lfunc_end0-bluestein_single_fwd_len150_dim1_sp_op_CI_CI
                                        ; -- End function
	.section	.AMDGPU.csdata,"",@progbits
; Kernel info:
; codeLenInByte = 22596
; NumSgprs: 22
; NumVgprs: 247
; ScratchSize: 0
; MemoryBound: 0
; FloatMode: 240
; IeeeMode: 1
; LDSByteSize: 14400 bytes/workgroup (compile time only)
; SGPRBlocks: 2
; VGPRBlocks: 30
; NumSGPRsForWavesPerEU: 22
; NumVGPRsForWavesPerEU: 247
; Occupancy: 5
; WaveLimiterHint : 1
; COMPUTE_PGM_RSRC2:SCRATCH_EN: 0
; COMPUTE_PGM_RSRC2:USER_SGPR: 2
; COMPUTE_PGM_RSRC2:TRAP_HANDLER: 0
; COMPUTE_PGM_RSRC2:TGID_X_EN: 1
; COMPUTE_PGM_RSRC2:TGID_Y_EN: 0
; COMPUTE_PGM_RSRC2:TGID_Z_EN: 0
; COMPUTE_PGM_RSRC2:TIDIG_COMP_CNT: 0
	.text
	.p2alignl 7, 3214868480
	.fill 96, 4, 3214868480
	.type	__hip_cuid_45217e92a7e0897c,@object ; @__hip_cuid_45217e92a7e0897c
	.section	.bss,"aw",@nobits
	.globl	__hip_cuid_45217e92a7e0897c
__hip_cuid_45217e92a7e0897c:
	.byte	0                               ; 0x0
	.size	__hip_cuid_45217e92a7e0897c, 1

	.ident	"AMD clang version 19.0.0git (https://github.com/RadeonOpenCompute/llvm-project roc-6.4.0 25133 c7fe45cf4b819c5991fe208aaa96edf142730f1d)"
	.section	".note.GNU-stack","",@progbits
	.addrsig
	.addrsig_sym __hip_cuid_45217e92a7e0897c
	.amdgpu_metadata
---
amdhsa.kernels:
  - .args:
      - .actual_access:  read_only
        .address_space:  global
        .offset:         0
        .size:           8
        .value_kind:     global_buffer
      - .actual_access:  read_only
        .address_space:  global
        .offset:         8
        .size:           8
        .value_kind:     global_buffer
      - .actual_access:  read_only
        .address_space:  global
        .offset:         16
        .size:           8
        .value_kind:     global_buffer
      - .actual_access:  read_only
        .address_space:  global
        .offset:         24
        .size:           8
        .value_kind:     global_buffer
      - .actual_access:  read_only
        .address_space:  global
        .offset:         32
        .size:           8
        .value_kind:     global_buffer
      - .offset:         40
        .size:           8
        .value_kind:     by_value
      - .address_space:  global
        .offset:         48
        .size:           8
        .value_kind:     global_buffer
      - .address_space:  global
        .offset:         56
        .size:           8
        .value_kind:     global_buffer
      - .address_space:  global
        .offset:         64
        .size:           8
        .value_kind:     global_buffer
      - .address_space:  global
        .offset:         72
        .size:           8
        .value_kind:     global_buffer
      - .offset:         80
        .size:           4
        .value_kind:     by_value
      - .address_space:  global
        .offset:         88
        .size:           8
        .value_kind:     global_buffer
      - .address_space:  global
        .offset:         96
        .size:           8
        .value_kind:     global_buffer
    .group_segment_fixed_size: 14400
    .kernarg_segment_align: 8
    .kernarg_segment_size: 104
    .language:       OpenCL C
    .language_version:
      - 2
      - 0
    .max_flat_workgroup_size: 60
    .name:           bluestein_single_fwd_len150_dim1_sp_op_CI_CI
    .private_segment_fixed_size: 0
    .sgpr_count:     22
    .sgpr_spill_count: 0
    .symbol:         bluestein_single_fwd_len150_dim1_sp_op_CI_CI.kd
    .uniform_work_group_size: 1
    .uses_dynamic_stack: false
    .vgpr_count:     247
    .vgpr_spill_count: 0
    .wavefront_size: 32
    .workgroup_processor_mode: 1
amdhsa.target:   amdgcn-amd-amdhsa--gfx1201
amdhsa.version:
  - 1
  - 2
...

	.end_amdgpu_metadata
